;; amdgpu-corpus repo=ROCm/rocFFT kind=compiled arch=gfx1030 opt=O3
	.text
	.amdgcn_target "amdgcn-amd-amdhsa--gfx1030"
	.amdhsa_code_object_version 6
	.protected	fft_rtc_fwd_len2250_factors_10_3_5_3_5_wgs_90_tpt_90_halfLds_sp_op_CI_CI_unitstride_sbrr_R2C_dirReg ; -- Begin function fft_rtc_fwd_len2250_factors_10_3_5_3_5_wgs_90_tpt_90_halfLds_sp_op_CI_CI_unitstride_sbrr_R2C_dirReg
	.globl	fft_rtc_fwd_len2250_factors_10_3_5_3_5_wgs_90_tpt_90_halfLds_sp_op_CI_CI_unitstride_sbrr_R2C_dirReg
	.p2align	8
	.type	fft_rtc_fwd_len2250_factors_10_3_5_3_5_wgs_90_tpt_90_halfLds_sp_op_CI_CI_unitstride_sbrr_R2C_dirReg,@function
fft_rtc_fwd_len2250_factors_10_3_5_3_5_wgs_90_tpt_90_halfLds_sp_op_CI_CI_unitstride_sbrr_R2C_dirReg: ; @fft_rtc_fwd_len2250_factors_10_3_5_3_5_wgs_90_tpt_90_halfLds_sp_op_CI_CI_unitstride_sbrr_R2C_dirReg
; %bb.0:
	s_clause 0x2
	s_load_dwordx4 s[12:15], s[4:5], 0x0
	s_load_dwordx4 s[8:11], s[4:5], 0x58
	;; [unrolled: 1-line block ×3, first 2 shown]
	v_mul_u32_u24_e32 v1, 0x2d9, v0
	v_mov_b32_e32 v3, 0
	v_add_nc_u32_sdwa v5, s6, v1 dst_sel:DWORD dst_unused:UNUSED_PAD src0_sel:DWORD src1_sel:WORD_1
	v_mov_b32_e32 v1, 0
	v_mov_b32_e32 v6, v3
	v_mov_b32_e32 v2, 0
	s_waitcnt lgkmcnt(0)
	v_cmp_lt_u64_e64 s0, s[14:15], 2
	s_and_b32 vcc_lo, exec_lo, s0
	s_cbranch_vccnz .LBB0_8
; %bb.1:
	s_load_dwordx2 s[0:1], s[4:5], 0x10
	v_mov_b32_e32 v1, 0
	v_mov_b32_e32 v2, 0
	s_add_u32 s2, s18, 8
	s_addc_u32 s3, s19, 0
	s_add_u32 s6, s16, 8
	s_addc_u32 s7, s17, 0
	v_mov_b32_e32 v63, v2
	v_mov_b32_e32 v62, v1
	s_mov_b64 s[22:23], 1
	s_waitcnt lgkmcnt(0)
	s_add_u32 s20, s0, 8
	s_addc_u32 s21, s1, 0
.LBB0_2:                                ; =>This Inner Loop Header: Depth=1
	s_load_dwordx2 s[24:25], s[20:21], 0x0
                                        ; implicit-def: $vgpr64_vgpr65
	s_mov_b32 s0, exec_lo
	s_waitcnt lgkmcnt(0)
	v_or_b32_e32 v4, s25, v6
	v_cmpx_ne_u64_e32 0, v[3:4]
	s_xor_b32 s1, exec_lo, s0
	s_cbranch_execz .LBB0_4
; %bb.3:                                ;   in Loop: Header=BB0_2 Depth=1
	v_cvt_f32_u32_e32 v4, s24
	v_cvt_f32_u32_e32 v7, s25
	s_sub_u32 s0, 0, s24
	s_subb_u32 s26, 0, s25
	v_fmac_f32_e32 v4, 0x4f800000, v7
	v_rcp_f32_e32 v4, v4
	v_mul_f32_e32 v4, 0x5f7ffffc, v4
	v_mul_f32_e32 v7, 0x2f800000, v4
	v_trunc_f32_e32 v7, v7
	v_fmac_f32_e32 v4, 0xcf800000, v7
	v_cvt_u32_f32_e32 v7, v7
	v_cvt_u32_f32_e32 v4, v4
	v_mul_lo_u32 v8, s0, v7
	v_mul_hi_u32 v9, s0, v4
	v_mul_lo_u32 v10, s26, v4
	v_add_nc_u32_e32 v8, v9, v8
	v_mul_lo_u32 v9, s0, v4
	v_add_nc_u32_e32 v8, v8, v10
	v_mul_hi_u32 v10, v4, v9
	v_mul_lo_u32 v11, v4, v8
	v_mul_hi_u32 v12, v4, v8
	v_mul_hi_u32 v13, v7, v9
	v_mul_lo_u32 v9, v7, v9
	v_mul_hi_u32 v14, v7, v8
	v_mul_lo_u32 v8, v7, v8
	v_add_co_u32 v10, vcc_lo, v10, v11
	v_add_co_ci_u32_e32 v11, vcc_lo, 0, v12, vcc_lo
	v_add_co_u32 v9, vcc_lo, v10, v9
	v_add_co_ci_u32_e32 v9, vcc_lo, v11, v13, vcc_lo
	v_add_co_ci_u32_e32 v10, vcc_lo, 0, v14, vcc_lo
	v_add_co_u32 v8, vcc_lo, v9, v8
	v_add_co_ci_u32_e32 v9, vcc_lo, 0, v10, vcc_lo
	v_add_co_u32 v4, vcc_lo, v4, v8
	v_add_co_ci_u32_e32 v7, vcc_lo, v7, v9, vcc_lo
	v_mul_hi_u32 v8, s0, v4
	v_mul_lo_u32 v10, s26, v4
	v_mul_lo_u32 v9, s0, v7
	v_add_nc_u32_e32 v8, v8, v9
	v_mul_lo_u32 v9, s0, v4
	v_add_nc_u32_e32 v8, v8, v10
	v_mul_hi_u32 v10, v4, v9
	v_mul_lo_u32 v11, v4, v8
	v_mul_hi_u32 v12, v4, v8
	v_mul_hi_u32 v13, v7, v9
	v_mul_lo_u32 v9, v7, v9
	v_mul_hi_u32 v14, v7, v8
	v_mul_lo_u32 v8, v7, v8
	v_add_co_u32 v10, vcc_lo, v10, v11
	v_add_co_ci_u32_e32 v11, vcc_lo, 0, v12, vcc_lo
	v_add_co_u32 v9, vcc_lo, v10, v9
	v_add_co_ci_u32_e32 v9, vcc_lo, v11, v13, vcc_lo
	v_add_co_ci_u32_e32 v10, vcc_lo, 0, v14, vcc_lo
	v_add_co_u32 v8, vcc_lo, v9, v8
	v_add_co_ci_u32_e32 v9, vcc_lo, 0, v10, vcc_lo
	v_add_co_u32 v4, vcc_lo, v4, v8
	v_add_co_ci_u32_e32 v11, vcc_lo, v7, v9, vcc_lo
	v_mul_hi_u32 v13, v5, v4
	v_mad_u64_u32 v[9:10], null, v6, v4, 0
	v_mad_u64_u32 v[7:8], null, v5, v11, 0
	;; [unrolled: 1-line block ×3, first 2 shown]
	v_add_co_u32 v4, vcc_lo, v13, v7
	v_add_co_ci_u32_e32 v7, vcc_lo, 0, v8, vcc_lo
	v_add_co_u32 v4, vcc_lo, v4, v9
	v_add_co_ci_u32_e32 v4, vcc_lo, v7, v10, vcc_lo
	v_add_co_ci_u32_e32 v7, vcc_lo, 0, v12, vcc_lo
	v_add_co_u32 v4, vcc_lo, v4, v11
	v_add_co_ci_u32_e32 v9, vcc_lo, 0, v7, vcc_lo
	v_mul_lo_u32 v10, s25, v4
	v_mad_u64_u32 v[7:8], null, s24, v4, 0
	v_mul_lo_u32 v11, s24, v9
	v_sub_co_u32 v7, vcc_lo, v5, v7
	v_add3_u32 v8, v8, v11, v10
	v_sub_nc_u32_e32 v10, v6, v8
	v_subrev_co_ci_u32_e64 v10, s0, s25, v10, vcc_lo
	v_add_co_u32 v11, s0, v4, 2
	v_add_co_ci_u32_e64 v12, s0, 0, v9, s0
	v_sub_co_u32 v13, s0, v7, s24
	v_sub_co_ci_u32_e32 v8, vcc_lo, v6, v8, vcc_lo
	v_subrev_co_ci_u32_e64 v10, s0, 0, v10, s0
	v_cmp_le_u32_e32 vcc_lo, s24, v13
	v_cmp_eq_u32_e64 s0, s25, v8
	v_cndmask_b32_e64 v13, 0, -1, vcc_lo
	v_cmp_le_u32_e32 vcc_lo, s25, v10
	v_cndmask_b32_e64 v14, 0, -1, vcc_lo
	v_cmp_le_u32_e32 vcc_lo, s24, v7
	;; [unrolled: 2-line block ×3, first 2 shown]
	v_cndmask_b32_e64 v15, 0, -1, vcc_lo
	v_cmp_eq_u32_e32 vcc_lo, s25, v10
	v_cndmask_b32_e64 v7, v15, v7, s0
	v_cndmask_b32_e32 v10, v14, v13, vcc_lo
	v_add_co_u32 v13, vcc_lo, v4, 1
	v_add_co_ci_u32_e32 v14, vcc_lo, 0, v9, vcc_lo
	v_cmp_ne_u32_e32 vcc_lo, 0, v10
	v_cndmask_b32_e32 v8, v14, v12, vcc_lo
	v_cndmask_b32_e32 v10, v13, v11, vcc_lo
	v_cmp_ne_u32_e32 vcc_lo, 0, v7
	v_cndmask_b32_e32 v65, v9, v8, vcc_lo
	v_cndmask_b32_e32 v64, v4, v10, vcc_lo
.LBB0_4:                                ;   in Loop: Header=BB0_2 Depth=1
	s_andn2_saveexec_b32 s0, s1
	s_cbranch_execz .LBB0_6
; %bb.5:                                ;   in Loop: Header=BB0_2 Depth=1
	v_cvt_f32_u32_e32 v4, s24
	s_sub_i32 s1, 0, s24
	v_mov_b32_e32 v65, v3
	v_rcp_iflag_f32_e32 v4, v4
	v_mul_f32_e32 v4, 0x4f7ffffe, v4
	v_cvt_u32_f32_e32 v4, v4
	v_mul_lo_u32 v7, s1, v4
	v_mul_hi_u32 v7, v4, v7
	v_add_nc_u32_e32 v4, v4, v7
	v_mul_hi_u32 v4, v5, v4
	v_mul_lo_u32 v7, v4, s24
	v_add_nc_u32_e32 v8, 1, v4
	v_sub_nc_u32_e32 v7, v5, v7
	v_subrev_nc_u32_e32 v9, s24, v7
	v_cmp_le_u32_e32 vcc_lo, s24, v7
	v_cndmask_b32_e32 v7, v7, v9, vcc_lo
	v_cndmask_b32_e32 v4, v4, v8, vcc_lo
	v_cmp_le_u32_e32 vcc_lo, s24, v7
	v_add_nc_u32_e32 v8, 1, v4
	v_cndmask_b32_e32 v64, v4, v8, vcc_lo
.LBB0_6:                                ;   in Loop: Header=BB0_2 Depth=1
	s_or_b32 exec_lo, exec_lo, s0
	v_mul_lo_u32 v4, v65, s24
	v_mul_lo_u32 v9, v64, s25
	s_load_dwordx2 s[0:1], s[6:7], 0x0
	v_mad_u64_u32 v[7:8], null, v64, s24, 0
	s_load_dwordx2 s[24:25], s[2:3], 0x0
	s_add_u32 s22, s22, 1
	s_addc_u32 s23, s23, 0
	s_add_u32 s2, s2, 8
	s_addc_u32 s3, s3, 0
	s_add_u32 s6, s6, 8
	v_add3_u32 v4, v8, v9, v4
	v_sub_co_u32 v5, vcc_lo, v5, v7
	s_addc_u32 s7, s7, 0
	s_add_u32 s20, s20, 8
	v_sub_co_ci_u32_e32 v4, vcc_lo, v6, v4, vcc_lo
	s_addc_u32 s21, s21, 0
	s_waitcnt lgkmcnt(0)
	v_mul_lo_u32 v6, s0, v4
	v_mul_lo_u32 v7, s1, v5
	v_mad_u64_u32 v[1:2], null, s0, v5, v[1:2]
	v_mul_lo_u32 v4, s24, v4
	v_mul_lo_u32 v8, s25, v5
	v_mad_u64_u32 v[62:63], null, s24, v5, v[62:63]
	v_cmp_ge_u64_e64 s0, s[22:23], s[14:15]
	v_add3_u32 v2, v7, v2, v6
	v_add3_u32 v63, v8, v63, v4
	s_and_b32 vcc_lo, exec_lo, s0
	s_cbranch_vccnz .LBB0_9
; %bb.7:                                ;   in Loop: Header=BB0_2 Depth=1
	v_mov_b32_e32 v5, v64
	v_mov_b32_e32 v6, v65
	s_branch .LBB0_2
.LBB0_8:
	v_mov_b32_e32 v63, v2
	v_mov_b32_e32 v65, v6
	;; [unrolled: 1-line block ×4, first 2 shown]
.LBB0_9:
	s_load_dwordx2 s[0:1], s[4:5], 0x28
	v_mul_hi_u32 v3, 0x2d82d83, v0
	s_lshl_b64 s[4:5], s[14:15], 3
                                        ; implicit-def: $vgpr60
                                        ; implicit-def: $vgpr66
                                        ; implicit-def: $vgpr68
	s_add_u32 s2, s18, s4
	s_addc_u32 s3, s19, s5
	s_waitcnt lgkmcnt(0)
	v_cmp_gt_u64_e32 vcc_lo, s[0:1], v[64:65]
	v_cmp_le_u64_e64 s0, s[0:1], v[64:65]
	s_and_saveexec_b32 s1, s0
	s_xor_b32 s0, exec_lo, s1
; %bb.10:
	v_mul_u32_u24_e32 v1, 0x5a, v3
                                        ; implicit-def: $vgpr3
	v_sub_nc_u32_e32 v60, v0, v1
                                        ; implicit-def: $vgpr0
                                        ; implicit-def: $vgpr1_vgpr2
	v_add_nc_u32_e32 v66, 0x5a, v60
	v_add_nc_u32_e32 v68, 0xb4, v60
; %bb.11:
	s_andn2_saveexec_b32 s1, s0
	s_cbranch_execz .LBB0_13
; %bb.12:
	s_add_u32 s4, s16, s4
	s_addc_u32 s5, s17, s5
	v_lshlrev_b64 v[1:2], 3, v[1:2]
	s_load_dwordx2 s[4:5], s[4:5], 0x0
	s_waitcnt lgkmcnt(0)
	v_mul_lo_u32 v6, s5, v64
	v_mul_lo_u32 v7, s4, v65
	v_mad_u64_u32 v[4:5], null, s4, v64, 0
	v_add3_u32 v5, v5, v7, v6
	v_mul_u32_u24_e32 v6, 0x5a, v3
	v_lshlrev_b64 v[3:4], 3, v[4:5]
	v_sub_nc_u32_e32 v60, v0, v6
	v_lshlrev_b32_e32 v50, 3, v60
	v_add_co_u32 v0, s0, s8, v3
	v_add_co_ci_u32_e64 v3, s0, s9, v4, s0
	v_add_nc_u32_e32 v66, 0x5a, v60
	v_add_co_u32 v0, s0, v0, v1
	v_add_co_ci_u32_e64 v1, s0, v3, v2, s0
	v_add_nc_u32_e32 v68, 0xb4, v60
	v_add_co_u32 v0, s0, v0, v50
	v_add_co_ci_u32_e64 v1, s0, 0, v1, s0
	v_add_nc_u32_e32 v50, 0, v50
	v_add_co_u32 v2, s0, 0x800, v0
	v_add_co_ci_u32_e64 v3, s0, 0, v1, s0
	v_add_co_u32 v4, s0, 0x1000, v0
	v_add_co_ci_u32_e64 v5, s0, 0, v1, s0
	;; [unrolled: 2-line block ×8, first 2 shown]
	s_clause 0x18
	global_load_dwordx2 v[18:19], v[0:1], off
	global_load_dwordx2 v[20:21], v[0:1], off offset:720
	global_load_dwordx2 v[0:1], v[0:1], off offset:1440
	;; [unrolled: 1-line block ×24, first 2 shown]
	v_add_nc_u32_e32 v51, 0x400, v50
	v_add_nc_u32_e32 v52, 0x800, v50
	;; [unrolled: 1-line block ×11, first 2 shown]
	s_waitcnt vmcnt(23)
	ds_write2_b64 v50, v[18:19], v[20:21] offset1:90
	s_waitcnt vmcnt(21)
	ds_write2_b64 v51, v[0:1], v[22:23] offset0:52 offset1:142
	s_waitcnt vmcnt(19)
	ds_write2_b64 v52, v[24:25], v[2:3] offset0:104 offset1:194
	;; [unrolled: 2-line block ×11, first 2 shown]
	s_waitcnt vmcnt(0)
	ds_write_b64 v50, v[16:17] offset:17280
.LBB0_13:
	s_or_b32 exec_lo, exec_lo, s1
	v_lshl_add_u32 v73, v60, 3, 0
	s_load_dwordx2 s[4:5], s[2:3], 0x0
	s_waitcnt lgkmcnt(0)
	s_barrier
	buffer_gl0_inv
	v_add_nc_u32_e32 v70, 0x1000, v73
	v_add_nc_u32_e32 v0, 0x2000, v73
	;; [unrolled: 1-line block ×5, first 2 shown]
	ds_read2_b64 v[4:7], v70 offset0:118 offset1:163
	ds_read2_b64 v[8:11], v0 offset0:56 offset1:101
	;; [unrolled: 1-line block ×4, first 2 shown]
	v_add_nc_u32_e32 v71, 0x1800, v73
	v_add_nc_u32_e32 v72, 0x2800, v73
	ds_read2_b64 v[32:35], v69 offset0:66 offset1:156
	ds_read2_b64 v[36:39], v71 offset0:132 offset1:222
	;; [unrolled: 1-line block ×5, first 2 shown]
	ds_read2_b64 v[28:31], v73 offset1:90
	v_add_nc_u32_e32 v74, 0x3000, v73
	v_add_nc_u32_e32 v76, 0x800, v73
	;; [unrolled: 1-line block ×3, first 2 shown]
	v_cmp_gt_u32_e64 s0, 45, v60
	s_waitcnt lgkmcnt(8)
	v_sub_f32_e32 v41, v6, v10
	s_waitcnt lgkmcnt(7)
	v_add_f32_e32 v40, v10, v14
	s_waitcnt lgkmcnt(6)
	v_sub_f32_e32 v81, v7, v19
	v_add_f32_e32 v42, v11, v15
	v_sub_f32_e32 v78, v11, v15
	v_sub_f32_e32 v43, v18, v14
	s_waitcnt lgkmcnt(1)
	v_fma_f32 v67, -0.5, v40, v2
	v_sub_f32_e32 v44, v7, v11
	v_sub_f32_e32 v45, v19, v15
	s_waitcnt lgkmcnt(0)
	v_add_f32_e32 v49, v28, v32
	v_fma_f32 v77, -0.5, v42, v3
	v_fmamk_f32 v42, v81, 0x3f737871, v67
	v_sub_f32_e32 v40, v33, v37
	v_sub_f32_e32 v48, v25, v21
	v_add_f32_e32 v50, v36, v20
	v_add_f32_e32 v86, v41, v43
	v_fmac_f32_e32 v42, 0x3f167918, v78
	v_add_f32_e32 v93, v44, v45
	v_add_f32_e32 v44, v49, v36
	;; [unrolled: 1-line block ×3, first 2 shown]
	v_sub_f32_e32 v82, v6, v18
	v_add_f32_e32 v51, v29, v33
	v_fmac_f32_e32 v42, 0x3e9e377a, v86
	v_add_f32_e32 v88, v40, v48
	v_add_f32_e32 v40, v44, v20
	v_fma_f32 v80, -0.5, v50, v28
	v_sub_f32_e32 v98, v37, v21
	v_fma_f32 v28, -0.5, v52, v28
	v_sub_f32_e32 v79, v10, v14
	v_fmamk_f32 v41, v82, 0xbf737871, v77
	v_sub_f32_e32 v46, v32, v36
	v_sub_f32_e32 v47, v24, v20
	v_mul_f32_e32 v84, 0x3f4f1bbd, v42
	v_mul_f32_e32 v85, 0xbf167918, v42
	v_add_f32_e32 v42, v51, v37
	v_add_f32_e32 v94, v40, v24
	v_sub_f32_e32 v95, v33, v25
	v_sub_f32_e32 v96, v32, v24
	;; [unrolled: 1-line block ×5, first 2 shown]
	v_fmamk_f32 v24, v98, 0xbf737871, v28
	v_fmac_f32_e32 v28, 0x3f737871, v98
	v_fmac_f32_e32 v41, 0xbf167918, v79
	v_add_f32_e32 v43, v37, v21
	v_add_f32_e32 v40, v2, v6
	;; [unrolled: 1-line block ×4, first 2 shown]
	v_fmac_f32_e32 v24, 0x3f167918, v95
	v_add_f32_e32 v32, v33, v25
	v_fmac_f32_e32 v28, 0xbf167918, v95
	v_sub_f32_e32 v33, v37, v33
	v_sub_f32_e32 v21, v21, v25
	v_fmac_f32_e32 v41, 0x3e9e377a, v93
	v_add_f32_e32 v40, v40, v10
	v_add_f32_e32 v101, v42, v25
	v_fma_f32 v25, -0.5, v32, v29
	v_fmac_f32_e32 v24, 0x3e9e377a, v20
	v_fmac_f32_e32 v28, 0x3e9e377a, v20
	v_add_f32_e32 v20, v33, v21
	v_add_f32_e32 v21, v7, v19
	;; [unrolled: 1-line block ×3, first 2 shown]
	v_fmac_f32_e32 v84, 0x3f167918, v41
	v_fmac_f32_e32 v85, 0x3f4f1bbd, v41
	v_add_f32_e32 v41, v3, v7
	v_add_f32_e32 v40, v40, v14
	v_sub_f32_e32 v6, v10, v6
	v_fma_f32 v3, -0.5, v21, v3
	v_sub_f32_e32 v10, v14, v18
	v_fma_f32 v2, -0.5, v32, v2
	v_add_f32_e32 v41, v41, v11
	v_add_f32_e32 v102, v40, v18
	v_mul_u32_u24_e32 v40, 10, v60
	v_sub_f32_e32 v7, v11, v7
	v_sub_f32_e32 v11, v15, v19
	v_fmamk_f32 v14, v79, 0x3f737871, v3
	v_add_f32_e32 v6, v6, v10
	v_fmamk_f32 v10, v78, 0xbf737871, v2
	v_fmac_f32_e32 v2, 0x3f737871, v78
	v_fmac_f32_e32 v3, 0xbf737871, v79
	v_add_f32_e32 v41, v41, v15
	v_lshl_add_u32 v104, v40, 3, 0
	v_add_nc_u32_e32 v40, 0x1400, v73
	v_add_f32_e32 v7, v7, v11
	v_fmac_f32_e32 v14, 0xbf167918, v82
	v_fmac_f32_e32 v10, 0x3f167918, v81
	;; [unrolled: 1-line block ×6, first 2 shown]
	v_add_f32_e32 v103, v41, v19
	v_add_nc_u32_e32 v41, 0x4000, v73
	v_add_f32_e32 v87, v46, v47
	v_fma_f32 v83, -0.5, v43, v29
	ds_read2_b64 v[48:51], v40 offset0:125 offset1:215
	ds_read2_b64 v[44:47], v41 offset0:67 offset1:157
	;; [unrolled: 1-line block ×5, first 2 shown]
	v_fmamk_f32 v29, v100, 0x3f737871, v25
	v_fmac_f32_e32 v25, 0xbf737871, v100
	v_fmac_f32_e32 v14, 0x3e9e377a, v7
	;; [unrolled: 1-line block ×7, first 2 shown]
	v_fmamk_f32 v97, v95, 0x3f737871, v80
	v_fmamk_f32 v99, v96, 0xbf737871, v83
	v_fmac_f32_e32 v29, 0xbf167918, v96
	v_fmac_f32_e32 v25, 0x3f167918, v96
	v_mul_f32_e32 v15, 0x3f737871, v14
	v_mul_f32_e32 v18, 0xbf737871, v10
	;; [unrolled: 1-line block ×4, first 2 shown]
	v_fmac_f32_e32 v80, 0xbf737871, v95
	v_fmac_f32_e32 v83, 0x3f737871, v96
	;; [unrolled: 1-line block ×10, first 2 shown]
	v_fma_f32 v19, 0x3f737871, v3, -v6
	v_fma_f32 v20, 0xbf737871, v2, -v7
	v_fmac_f32_e32 v80, 0xbf167918, v98
	v_fmac_f32_e32 v83, 0x3f167918, v100
	v_mul_f32_e32 v10, 0x3f4f1bbd, v67
	v_mul_f32_e32 v11, 0x3f4f1bbd, v77
	v_fmac_f32_e32 v97, 0x3e9e377a, v87
	v_fmac_f32_e32 v99, 0x3e9e377a, v88
	v_add_f32_e32 v2, v24, v15
	v_add_f32_e32 v3, v29, v18
	v_add_f32_e32 v6, v28, v19
	v_add_f32_e32 v7, v25, v20
	v_fmac_f32_e32 v80, 0x3e9e377a, v87
	v_fmac_f32_e32 v83, 0x3e9e377a, v88
	v_fma_f32 v21, 0x3f167918, v77, -v10
	v_fma_f32 v32, 0xbf167918, v67, -v11
	v_add_f32_e32 v89, v94, v102
	v_add_f32_e32 v90, v101, v103
	;; [unrolled: 1-line block ×4, first 2 shown]
	s_waitcnt lgkmcnt(0)
	s_barrier
	buffer_gl0_inv
	ds_write2_b64 v104, v[2:3], v[6:7] offset0:2 offset1:3
	v_sub_f32_e32 v2, v94, v102
	v_sub_f32_e32 v3, v101, v103
	v_add_f32_e32 v6, v80, v21
	v_add_f32_e32 v7, v83, v32
	v_sub_f32_e32 v14, v24, v15
	v_sub_f32_e32 v15, v29, v18
	;; [unrolled: 1-line block ×4, first 2 shown]
	v_add_f32_e32 v24, v30, v34
	v_add_f32_e32 v25, v31, v35
	;; [unrolled: 1-line block ×3, first 2 shown]
	v_sub_f32_e32 v10, v97, v84
	v_sub_f32_e32 v11, v99, v85
	;; [unrolled: 1-line block ×4, first 2 shown]
	ds_write2_b64 v104, v[89:90], v[91:92] offset1:1
	ds_write2_b64 v104, v[6:7], v[2:3] offset0:4 offset1:5
	ds_write2_b64 v104, v[10:11], v[14:15] offset0:6 offset1:7
	;; [unrolled: 1-line block ×3, first 2 shown]
	v_add_f32_e32 v2, v24, v38
	v_add_f32_e32 v3, v25, v39
	v_sub_f32_e32 v7, v34, v38
	v_sub_f32_e32 v11, v38, v34
	;; [unrolled: 1-line block ×5, first 2 shown]
	v_add_f32_e32 v21, v34, v26
	v_sub_f32_e32 v24, v34, v26
	v_add_f32_e32 v25, v35, v27
	v_sub_f32_e32 v32, v48, v56
	v_sub_f32_e32 v33, v44, v52
	v_add_f32_e32 v34, v57, v53
	v_fma_f32 v28, -0.5, v28, v40
	v_sub_f32_e32 v35, v49, v45
	v_add_f32_e32 v6, v38, v22
	v_sub_f32_e32 v10, v39, v23
	v_add_f32_e32 v14, v39, v23
	;; [unrolled: 2-line block ×3, first 2 shown]
	v_add_f32_e32 v3, v3, v23
	v_add_f32_e32 v36, v32, v33
	v_fma_f32 v37, -0.5, v34, v41
	v_sub_f32_e32 v32, v48, v44
	v_fmamk_f32 v33, v35, 0x3f737871, v28
	v_sub_f32_e32 v34, v57, v53
	v_sub_f32_e32 v38, v49, v57
	;; [unrolled: 1-line block ×5, first 2 shown]
	v_fmamk_f32 v67, v32, 0xbf737871, v37
	v_sub_f32_e32 v77, v56, v52
	v_fmac_f32_e32 v33, 0x3f167918, v34
	v_add_f32_e32 v26, v2, v26
	v_add_f32_e32 v38, v38, v39
	;; [unrolled: 1-line block ×5, first 2 shown]
	v_fma_f32 v79, -0.5, v6, v30
	v_fma_f32 v14, -0.5, v14, v31
	v_sub_f32_e32 v78, v27, v23
	v_fmac_f32_e32 v67, 0xbf167918, v77
	v_fmac_f32_e32 v33, 0x3e9e377a, v36
	v_add_f32_e32 v2, v2, v56
	v_add_f32_e32 v3, v3, v57
	v_fmamk_f32 v81, v20, 0x3f737871, v79
	v_fmamk_f32 v82, v24, 0xbf737871, v14
	v_add_f32_e32 v29, v7, v29
	v_add_f32_e32 v18, v18, v78
	v_fmac_f32_e32 v67, 0x3e9e377a, v38
	v_mul_f32_e32 v78, 0x3f4f1bbd, v33
	v_mul_f32_e32 v80, 0xbf167918, v33
	v_add_f32_e32 v2, v2, v52
	v_add_f32_e32 v3, v3, v53
	v_fmac_f32_e32 v81, 0x3f167918, v10
	v_fmac_f32_e32 v82, 0xbf167918, v15
	;; [unrolled: 1-line block ×4, first 2 shown]
	v_add_f32_e32 v83, v2, v44
	v_add_f32_e32 v84, v3, v45
	v_fmac_f32_e32 v81, 0x3e9e377a, v29
	v_fmac_f32_e32 v82, 0x3e9e377a, v18
	v_fma_f32 v21, -0.5, v21, v30
	v_mul_i32_i24_e32 v30, 10, v66
	v_add_f32_e32 v2, v26, v83
	v_add_f32_e32 v3, v39, v84
	;; [unrolled: 1-line block ×4, first 2 shown]
	v_lshl_add_u32 v67, v30, 3, 0
	v_fmamk_f32 v85, v10, 0xbf737871, v21
	v_fmac_f32_e32 v21, 0x3f737871, v10
	v_add_f32_e32 v11, v11, v22
	v_sub_f32_e32 v22, v23, v27
	ds_write2_b64 v67, v[2:3], v[6:7] offset1:1
	v_add_f32_e32 v6, v48, v44
	v_fmac_f32_e32 v85, 0x3f167918, v20
	v_fmac_f32_e32 v21, 0xbf167918, v20
	v_add_f32_e32 v2, v49, v45
	v_fmac_f32_e32 v31, -0.5, v25
	v_fma_f32 v6, -0.5, v6, v40
	v_fmac_f32_e32 v85, 0x3e9e377a, v11
	v_fmac_f32_e32 v21, 0x3e9e377a, v11
	v_add_f32_e32 v7, v19, v22
	v_fma_f32 v2, -0.5, v2, v41
	v_sub_f32_e32 v11, v57, v49
	v_sub_f32_e32 v19, v53, v45
	;; [unrolled: 1-line block ×4, first 2 shown]
	v_fmamk_f32 v27, v34, 0xbf737871, v6
	v_fmac_f32_e32 v6, 0x3f737871, v34
	v_fmamk_f32 v22, v77, 0x3f737871, v2
	v_add_f32_e32 v11, v11, v19
	v_fmac_f32_e32 v2, 0xbf737871, v77
	v_add_f32_e32 v19, v23, v25
	v_fmac_f32_e32 v6, 0xbf167918, v35
	v_fmac_f32_e32 v28, 0xbf737871, v35
	;; [unrolled: 1-line block ×7, first 2 shown]
	v_fmamk_f32 v3, v15, 0x3f737871, v31
	v_fmac_f32_e32 v31, 0xbf737871, v15
	v_fmac_f32_e32 v27, 0x3f167918, v35
	;; [unrolled: 1-line block ×4, first 2 shown]
	v_mul_f32_e32 v11, 0x3e9e377a, v6
	v_fmac_f32_e32 v37, 0x3f167918, v77
	v_fmac_f32_e32 v28, 0x3e9e377a, v36
	;; [unrolled: 1-line block ×5, first 2 shown]
	v_mul_f32_e32 v19, 0x3e9e377a, v2
	v_fma_f32 v11, 0x3f737871, v2, -v11
	v_fmac_f32_e32 v79, 0xbf737871, v20
	v_fmac_f32_e32 v37, 0x3e9e377a, v38
	v_mul_f32_e32 v2, 0x3f4f1bbd, v28
	v_fmac_f32_e32 v3, 0x3e9e377a, v7
	v_fmac_f32_e32 v31, 0x3e9e377a, v7
	v_mul_f32_e32 v7, 0xbf737871, v27
	v_fma_f32 v19, 0xbf737871, v6, -v19
	v_fmac_f32_e32 v14, 0x3f737871, v24
	v_fmac_f32_e32 v79, 0xbf167918, v10
	v_mul_f32_e32 v6, 0x3f4f1bbd, v37
	v_fma_f32 v10, 0x3f167918, v37, -v2
	v_add_f32_e32 v2, v8, v12
	v_fmac_f32_e32 v7, 0x3e9e377a, v22
	v_fmac_f32_e32 v14, 0x3f167918, v15
	v_fmac_f32_e32 v79, 0x3e9e377a, v29
	v_fma_f32 v15, 0xbf167918, v28, -v6
	v_fma_f32 v2, -0.5, v2, v0
	v_sub_f32_e32 v6, v5, v17
	v_add_f32_e32 v33, v3, v7
	v_add_f32_e32 v34, v21, v11
	v_fmac_f32_e32 v14, 0x3e9e377a, v18
	v_add_f32_e32 v38, v79, v10
	v_sub_f32_e32 v45, v3, v7
	v_sub_f32_e32 v30, v21, v11
	;; [unrolled: 1-line block ×3, first 2 shown]
	v_fmamk_f32 v3, v6, 0x3f737871, v2
	v_sub_f32_e32 v7, v9, v13
	v_sub_f32_e32 v10, v4, v8
	;; [unrolled: 1-line block ×3, first 2 shown]
	v_fmac_f32_e32 v2, 0xbf737871, v6
	v_sub_f32_e32 v37, v39, v84
	v_add_f32_e32 v39, v14, v15
	v_sub_f32_e32 v40, v81, v78
	v_add_f32_e32 v18, v9, v13
	v_sub_f32_e32 v78, v14, v15
	v_fmac_f32_e32 v3, 0x3f167918, v7
	v_add_f32_e32 v14, v10, v11
	v_fmac_f32_e32 v2, 0xbf167918, v7
	v_mul_f32_e32 v23, 0x3f737871, v22
	v_add_f32_e32 v35, v31, v19
	v_sub_f32_e32 v36, v26, v83
	v_sub_f32_e32 v31, v31, v19
	v_fma_f32 v26, -0.5, v18, v1
	v_sub_f32_e32 v18, v5, v9
	v_sub_f32_e32 v19, v17, v13
	v_fmac_f32_e32 v3, 0x3e9e377a, v14
	v_fmac_f32_e32 v2, 0x3e9e377a, v14
	v_add_f32_e32 v14, v58, v54
	v_fmac_f32_e32 v23, 0x3e9e377a, v27
	v_add_f32_e32 v18, v18, v19
	v_sub_f32_e32 v19, v50, v58
	v_sub_f32_e32 v20, v46, v54
	v_add_f32_e32 v21, v59, v55
	v_fma_f32 v22, -0.5, v14, v42
	v_sub_f32_e32 v25, v51, v47
	v_add_f32_e32 v32, v85, v23
	v_sub_f32_e32 v44, v85, v23
	v_sub_f32_e32 v11, v4, v16
	v_add_f32_e32 v19, v19, v20
	v_fma_f32 v20, -0.5, v21, v43
	v_sub_f32_e32 v21, v50, v46
	v_fmamk_f32 v23, v25, 0x3f737871, v22
	v_sub_f32_e32 v27, v59, v55
	v_fmamk_f32 v10, v11, 0xbf737871, v26
	v_sub_f32_e32 v15, v8, v12
	v_fmac_f32_e32 v26, 0x3f737871, v11
	v_sub_f32_e32 v14, v51, v59
	v_sub_f32_e32 v24, v47, v55
	v_fmamk_f32 v48, v21, 0xbf737871, v20
	v_sub_f32_e32 v28, v58, v54
	v_fmac_f32_e32 v23, 0x3f167918, v27
	v_fmac_f32_e32 v22, 0xbf737871, v25
	;; [unrolled: 1-line block ×5, first 2 shown]
	v_add_f32_e32 v24, v14, v24
	v_fmac_f32_e32 v48, 0xbf167918, v28
	v_fmac_f32_e32 v23, 0x3e9e377a, v19
	;; [unrolled: 1-line block ×6, first 2 shown]
	v_mul_f32_e32 v14, 0x3f4f1bbd, v23
	v_fmac_f32_e32 v22, 0x3e9e377a, v19
	v_fmac_f32_e32 v26, 0x3e9e377a, v18
	;; [unrolled: 1-line block ×3, first 2 shown]
	v_mul_f32_e32 v18, 0xbf167918, v23
	v_add_f32_e32 v23, v0, v4
	v_add_f32_e32 v24, v1, v5
	;; [unrolled: 1-line block ×4, first 2 shown]
	v_mul_f32_e32 v19, 0x3f4f1bbd, v22
	v_add_f32_e32 v23, v23, v8
	v_add_f32_e32 v24, v24, v9
	;; [unrolled: 1-line block ×4, first 2 shown]
	v_fma_f32 v19, 0x3f167918, v20, -v19
	v_mul_f32_e32 v20, 0x3f4f1bbd, v20
	v_add_f32_e32 v23, v23, v12
	v_add_f32_e32 v24, v24, v13
	;; [unrolled: 1-line block ×4, first 2 shown]
	v_fmac_f32_e32 v14, 0x3f167918, v48
	v_fma_f32 v29, 0xbf167918, v22, -v20
	v_add_f32_e32 v20, v23, v16
	v_add_f32_e32 v23, v24, v17
	;; [unrolled: 1-line block ×4, first 2 shown]
	v_fmac_f32_e32 v18, 0x3f4f1bbd, v48
	v_add_f32_e32 v52, v2, v19
	v_add_f32_e32 v53, v26, v29
	v_sub_f32_e32 v48, v20, v22
	v_sub_f32_e32 v49, v23, v24
	;; [unrolled: 1-line block ×5, first 2 shown]
	ds_write2_b64 v67, v[32:33], v[34:35] offset0:2 offset1:3
	ds_write2_b64 v67, v[38:39], v[36:37] offset0:4 offset1:5
	;; [unrolled: 1-line block ×4, first 2 shown]
	s_and_saveexec_b32 s1, s0
	s_cbranch_execz .LBB0_15
; %bb.14:
	v_sub_f32_e32 v26, v26, v29
	v_add_f32_e32 v29, v50, v46
	v_sub_f32_e32 v31, v59, v51
	v_sub_f32_e32 v32, v55, v47
	v_add_f32_e32 v30, v51, v47
	v_sub_f32_e32 v9, v9, v5
	v_fma_f32 v29, -0.5, v29, v42
	v_add_f32_e32 v5, v5, v17
	v_add_f32_e32 v31, v31, v32
	v_fmac_f32_e32 v43, -0.5, v30
	v_sub_f32_e32 v30, v58, v50
	v_fmamk_f32 v32, v27, 0x3f737871, v29
	v_fmac_f32_e32 v29, 0xbf737871, v27
	v_sub_f32_e32 v34, v54, v46
	v_fmamk_f32 v33, v28, 0xbf737871, v43
	v_fmac_f32_e32 v43, 0x3f737871, v28
	v_fmac_f32_e32 v32, 0xbf167918, v25
	;; [unrolled: 1-line block ×3, first 2 shown]
	v_add_f32_e32 v25, v4, v16
	v_fma_f32 v5, -0.5, v5, v1
	v_sub_f32_e32 v1, v13, v17
	v_add_f32_e32 v13, v30, v34
	v_fmac_f32_e32 v33, 0x3f167918, v21
	v_fmac_f32_e32 v0, -0.5, v25
	v_fmac_f32_e32 v43, 0xbf167918, v21
	v_fmamk_f32 v17, v15, 0xbf737871, v5
	v_fmac_f32_e32 v32, 0x3e9e377a, v13
	v_fmac_f32_e32 v5, 0x3f737871, v15
	;; [unrolled: 1-line block ×3, first 2 shown]
	v_sub_f32_e32 v4, v8, v4
	v_sub_f32_e32 v8, v12, v16
	v_fmamk_f32 v13, v7, 0x3f737871, v0
	v_fmac_f32_e32 v0, 0xbf737871, v7
	v_fmac_f32_e32 v33, 0x3e9e377a, v31
	;; [unrolled: 1-line block ×3, first 2 shown]
	v_add_f32_e32 v9, v9, v1
	v_fmac_f32_e32 v17, 0x3f167918, v11
	v_fmac_f32_e32 v5, 0xbf167918, v11
	v_mul_f32_e32 v11, 0xbf737871, v29
	v_add_f32_e32 v7, v4, v8
	v_fmac_f32_e32 v13, 0xbf167918, v6
	v_fmac_f32_e32 v0, 0x3f167918, v6
	v_mul_f32_e32 v1, 0x3e9e377a, v33
	v_mul_f32_e32 v8, 0x3e9e377a, v32
	;; [unrolled: 1-line block ×3, first 2 shown]
	v_fmac_f32_e32 v5, 0x3e9e377a, v9
	v_fmac_f32_e32 v11, 0x3e9e377a, v43
	;; [unrolled: 1-line block ×4, first 2 shown]
	v_mul_i32_i24_e32 v7, 10, v68
	v_fmac_f32_e32 v17, 0x3e9e377a, v9
	v_fma_f32 v15, 0xbf737871, v32, -v1
	v_fma_f32 v21, 0x3f737871, v33, -v8
	v_fmac_f32_e32 v16, 0x3e9e377a, v29
	v_sub_f32_e32 v4, v5, v11
	v_add_f32_e32 v8, v5, v11
	v_add_f32_e32 v10, v10, v18
	;; [unrolled: 1-line block ×5, first 2 shown]
	v_lshl_add_u32 v14, v7, 3, 0
	v_add_f32_e32 v6, v17, v15
	v_add_f32_e32 v5, v13, v21
	;; [unrolled: 1-line block ×3, first 2 shown]
	v_sub_f32_e32 v3, v0, v16
	v_sub_f32_e32 v1, v17, v15
	v_sub_f32_e32 v25, v2, v19
	v_sub_f32_e32 v0, v13, v21
	ds_write2_b64 v14, v[11:12], v[9:10] offset1:1
	ds_write2_b64 v14, v[7:8], v[5:6] offset0:2 offset1:3
	ds_write2_b64 v14, v[52:53], v[48:49] offset0:4 offset1:5
	;; [unrolled: 1-line block ×4, first 2 shown]
.LBB0_15:
	s_or_b32 exec_lo, exec_lo, s1
	v_add_nc_u32_e32 v8, 0x1c00, v73
	v_add_nc_u32_e32 v9, 0x3400, v73
	s_waitcnt lgkmcnt(0)
	s_barrier
	buffer_gl0_inv
	ds_read_b64 v[54:55], v73
	ds_read2_b64 v[0:3], v70 offset0:118 offset1:238
	ds_read2_b64 v[12:15], v72 offset0:100 offset1:220
	v_mad_i32_i24 v40, 0xffffffb8, v66, v67
	ds_read2_b64 v[36:39], v71 offset0:72 offset1:162
	ds_read2_b64 v[32:35], v74 offset0:54 offset1:144
	v_lshl_add_u32 v74, v68, 3, 0
	ds_read2_b64 v[4:7], v76 offset0:14 offset1:104
	ds_read2_b64 v[28:31], v8 offset0:124 offset1:214
	;; [unrolled: 1-line block ×6, first 2 shown]
	ds_read_b64 v[69:70], v40
	ds_read_b64 v[58:59], v74
	ds_read_b64 v[50:51], v73 offset:17040
	v_cmp_gt_u32_e64 s1, 30, v60
	s_and_saveexec_b32 s2, s1
	s_cbranch_execz .LBB0_17
; %bb.16:
	ds_read_b64 v[52:53], v73 offset:5760
	ds_read_b64 v[48:49], v73 offset:11760
	;; [unrolled: 1-line block ×3, first 2 shown]
.LBB0_17:
	s_or_b32 exec_lo, exec_lo, s2
	v_and_b32_e32 v43, 0xff, v66
	v_mov_b32_e32 v47, 0xcccd
	v_mov_b32_e32 v100, 4
	v_add_nc_u32_e32 v46, 0x10e, v60
	v_add_nc_u32_e32 v45, 0x168, v60
	v_mul_lo_u16 v40, 0xcd, v43
	v_mul_u32_u24_sdwa v41, v68, v47 dst_sel:DWORD dst_unused:UNUSED_PAD src0_sel:WORD_0 src1_sel:DWORD
	v_add_nc_u32_e32 v42, 0x1c2, v60
	v_and_b32_e32 v71, 0xff, v60
	v_mul_u32_u24_sdwa v72, v46, v47 dst_sel:DWORD dst_unused:UNUSED_PAD src0_sel:WORD_0 src1_sel:DWORD
	v_lshrrev_b16 v87, 11, v40
	v_lshrrev_b32_e32 v99, 19, v41
	v_add_nc_u32_e32 v44, 0x276, v60
	v_mul_u32_u24_sdwa v83, v45, v47 dst_sel:DWORD dst_unused:UNUSED_PAD src0_sel:WORD_0 src1_sel:DWORD
	v_mul_u32_u24_sdwa v84, v42, v47 dst_sel:DWORD dst_unused:UNUSED_PAD src0_sel:WORD_0 src1_sel:DWORD
	v_mul_lo_u16 v40, v87, 10
	v_mul_lo_u16 v41, v99, 10
	;; [unrolled: 1-line block ×3, first 2 shown]
	v_lshrrev_b32_e32 v103, 19, v72
	v_mul_u32_u24_sdwa v89, v44, v47 dst_sel:DWORD dst_unused:UNUSED_PAD src0_sel:WORD_0 src1_sel:DWORD
	v_sub_nc_u16 v101, v66, v40
	v_sub_nc_u16 v102, v68, v41
	v_lshrrev_b32_e32 v104, 19, v83
	v_lshrrev_b32_e32 v105, 19, v84
	v_lshrrev_b16 v83, 11, v86
	v_lshlrev_b32_sdwa v40, v100, v101 dst_sel:DWORD dst_unused:UNUSED_PAD src0_sel:DWORD src1_sel:BYTE_0
	v_lshlrev_b32_sdwa v41, v100, v102 dst_sel:DWORD dst_unused:UNUSED_PAD src0_sel:DWORD src1_sel:WORD_0
	v_mul_lo_u16 v84, v103, 10
	v_lshrrev_b32_e32 v107, 19, v89
	v_mov_b32_e32 v88, 0xf0
	s_clause 0x1
	global_load_dwordx4 v[75:78], v40, s[12:13]
	global_load_dwordx4 v[79:82], v41, s[12:13]
	v_add_nc_u32_e32 v41, 0x21c, v60
	v_add_nc_u32_e32 v40, 0x2d0, v60
	v_sub_nc_u16 v108, v46, v84
	v_mul_lo_u16 v84, v83, 10
	v_mul_lo_u16 v109, v107, 10
	v_mul_u32_u24_sdwa v85, v41, v47 dst_sel:DWORD dst_unused:UNUSED_PAD src0_sel:WORD_0 src1_sel:DWORD
	v_mul_u32_u24_sdwa v47, v40, v47 dst_sel:DWORD dst_unused:UNUSED_PAD src0_sel:WORD_0 src1_sel:DWORD
	v_mov_b32_e32 v61, 3
	v_sub_nc_u16 v113, v60, v84
	v_mul_u32_u24_sdwa v111, v83, v88 dst_sel:DWORD dst_unused:UNUSED_PAD src0_sel:WORD_0 src1_sel:DWORD
	v_lshrrev_b32_e32 v106, 19, v85
	v_lshrrev_b32_e32 v72, 19, v47
	v_mul_lo_u16 v47, v104, 10
	v_mul_lo_u16 v85, v105, 10
	v_lshlrev_b32_sdwa v83, v100, v108 dst_sel:DWORD dst_unused:UNUSED_PAD src0_sel:DWORD src1_sel:WORD_0
	v_mul_lo_u16 v86, v106, 10
	v_mul_lo_u16 v110, v72, 10
	v_sub_nc_u16 v47, v45, v47
	v_sub_nc_u16 v112, v42, v85
	;; [unrolled: 1-line block ×4, first 2 shown]
	v_lshlrev_b32_sdwa v95, v100, v113 dst_sel:DWORD dst_unused:UNUSED_PAD src0_sel:DWORD src1_sel:BYTE_0
	v_lshlrev_b32_sdwa v89, v100, v47 dst_sel:DWORD dst_unused:UNUSED_PAD src0_sel:DWORD src1_sel:WORD_0
	v_lshlrev_b32_sdwa v91, v100, v112 dst_sel:DWORD dst_unused:UNUSED_PAD src0_sel:DWORD src1_sel:WORD_0
	global_load_dwordx4 v[83:86], v83, s[12:13]
	v_mul_u32_u24_sdwa v115, v87, v88 dst_sel:DWORD dst_unused:UNUSED_PAD src0_sel:WORD_0 src1_sel:DWORD
	v_lshlrev_b32_sdwa v116, v100, v114 dst_sel:DWORD dst_unused:UNUSED_PAD src0_sel:DWORD src1_sel:WORD_0
	s_clause 0x2
	global_load_dwordx4 v[87:90], v89, s[12:13]
	global_load_dwordx4 v[91:94], v91, s[12:13]
	;; [unrolled: 1-line block ×3, first 2 shown]
	v_lshlrev_b32_sdwa v47, v61, v47 dst_sel:DWORD dst_unused:UNUSED_PAD src0_sel:DWORD src1_sel:WORD_0
	s_waitcnt vmcnt(5) lgkmcnt(9)
	v_mul_f32_e32 v119, v78, v32
	v_mul_f32_e32 v117, v76, v37
	;; [unrolled: 1-line block ×4, first 2 shown]
	s_waitcnt vmcnt(4)
	v_mul_f32_e32 v120, v80, v39
	v_fmac_f32_e32 v119, v77, v33
	v_sub_nc_u16 v33, v40, v110
	v_fma_f32 v117, v75, v36, -v117
	v_fma_f32 v121, v77, v32, -v76
	v_mul_f32_e32 v80, v80, v38
	v_mul_u32_u24_e32 v32, 0xf0, v99
	v_lshlrev_b32_sdwa v36, v100, v109 dst_sel:DWORD dst_unused:UNUSED_PAD src0_sel:DWORD src1_sel:WORD_0
	v_lshlrev_b32_sdwa v99, v61, v101 dst_sel:DWORD dst_unused:UNUSED_PAD src0_sel:DWORD src1_sel:BYTE_0
	v_lshlrev_b32_sdwa v101, v61, v102 dst_sel:DWORD dst_unused:UNUSED_PAD src0_sel:DWORD src1_sel:WORD_0
	v_lshlrev_b32_sdwa v100, v100, v33 dst_sel:DWORD dst_unused:UNUSED_PAD src0_sel:DWORD src1_sel:WORD_0
	v_fmac_f32_e32 v118, v75, v37
	global_load_dwordx4 v[75:78], v116, s[12:13]
	v_fma_f32 v110, v79, v38, -v120
	v_fmac_f32_e32 v80, v79, v39
	v_lshlrev_b32_sdwa v79, v61, v113 dst_sel:DWORD dst_unused:UNUSED_PAD src0_sel:DWORD src1_sel:BYTE_0
	global_load_dwordx4 v[36:39], v36, s[12:13]
	v_add3_u32 v113, 0, v115, v99
	v_add3_u32 v115, 0, v32, v101
	global_load_dwordx4 v[99:102], v100, s[12:13]
	v_add3_u32 v111, 0, v111, v79
	v_mul_u32_u24_e32 v32, 0xf0, v103
	v_lshlrev_b32_sdwa v79, v61, v108 dst_sel:DWORD dst_unused:UNUSED_PAD src0_sel:DWORD src1_sel:WORD_0
	v_lshlrev_b32_sdwa v108, v61, v114 dst_sel:DWORD dst_unused:UNUSED_PAD src0_sel:DWORD src1_sel:WORD_0
	v_lshlrev_b32_sdwa v109, v61, v109 dst_sel:DWORD dst_unused:UNUSED_PAD src0_sel:DWORD src1_sel:WORD_0
	s_waitcnt vmcnt(0) lgkmcnt(0)
	s_barrier
	v_add3_u32 v103, 0, v32, v79
	v_mul_u32_u24_e32 v79, 0xf0, v104
	v_mul_u32_u24_e32 v104, 0xf0, v105
	;; [unrolled: 1-line block ×4, first 2 shown]
	v_lshlrev_b32_sdwa v107, v61, v112 dst_sel:DWORD dst_unused:UNUSED_PAD src0_sel:DWORD src1_sel:WORD_0
	v_add3_u32 v112, 0, v79, v47
	v_mul_f32_e32 v47, v82, v35
	v_mul_f32_e32 v79, v82, v34
	;; [unrolled: 1-line block ×3, first 2 shown]
	v_add3_u32 v104, 0, v104, v107
	v_mul_f32_e32 v84, v84, v28
	v_fma_f32 v34, v81, v34, -v47
	v_fmac_f32_e32 v79, v81, v35
	v_mul_f32_e32 v35, v25, v86
	v_mul_f32_e32 v47, v24, v86
	;; [unrolled: 1-line block ×8, first 2 shown]
	v_fma_f32 v28, v83, v28, -v82
	v_fmac_f32_e32 v84, v83, v29
	v_fma_f32 v29, v24, v85, -v35
	v_fmac_f32_e32 v47, v25, v85
	v_mul_f32_e32 v25, v21, v94
	v_mul_f32_e32 v35, v20, v94
	v_fma_f32 v30, v30, v87, -v81
	v_mul_f32_e32 v81, v96, v3
	v_mul_f32_e32 v83, v96, v2
	v_fma_f32 v26, v26, v89, -v88
	v_fmac_f32_e32 v90, v27, v89
	v_mul_f32_e32 v27, v98, v15
	v_mul_f32_e32 v85, v98, v14
	v_fma_f32 v94, v16, v91, -v107
	v_fmac_f32_e32 v92, v17, v91
	v_fmac_f32_e32 v86, v31, v87
	;; [unrolled: 1-line block ×3, first 2 shown]
	v_fma_f32 v14, v97, v14, -v27
	v_fmac_f32_e32 v85, v97, v15
	v_fma_f32 v25, v20, v93, -v25
	v_fmac_f32_e32 v35, v21, v93
	v_add_f32_e32 v15, v55, v83
	v_add_f32_e32 v20, v58, v110
	v_add3_u32 v105, 0, v105, v108
	v_add3_u32 v106, 0, v106, v109
	v_add_f32_e32 v21, v59, v80
	v_add_f32_e32 v91, v7, v86
	v_sub_f32_e32 v96, v92, v35
	v_add_f32_e32 v97, v9, v92
	v_add_f32_e32 v92, v92, v35
	v_sub_f32_e32 v93, v30, v26
	v_mul_i32_i24_e32 v32, 0xffffffb8, v66
	buffer_gl0_inv
	v_fma_f32 v9, -0.5, v92, v9
	v_mul_f32_e32 v82, v19, v76
	v_mul_f32_e32 v76, v18, v76
	v_mul_f32_e32 v31, v23, v78
	v_mul_f32_e32 v78, v22, v78
	v_mul_f32_e32 v87, v13, v37
	v_mul_f32_e32 v37, v12, v37
	v_mul_f32_e32 v88, v51, v39
	v_mul_f32_e32 v89, v49, v100
	v_mul_f32_e32 v24, v48, v100
	v_mul_f32_e32 v17, v57, v102
	v_mul_f32_e32 v16, v56, v102
	v_mul_f32_e32 v39, v50, v39
	v_fmac_f32_e32 v76, v19, v75
	v_fma_f32 v19, v95, v2, -v81
	v_fma_f32 v3, v48, v99, -v89
	v_fmac_f32_e32 v24, v49, v99
	v_fma_f32 v2, v56, v101, -v17
	v_fmac_f32_e32 v16, v57, v101
	v_fma_f32 v18, v18, v75, -v82
	v_fma_f32 v31, v22, v77, -v31
	v_fmac_f32_e32 v78, v23, v77
	v_fma_f32 v12, v12, v36, -v87
	v_fmac_f32_e32 v37, v13, v36
	;; [unrolled: 2-line block ×3, first 2 shown]
	v_add_f32_e32 v13, v54, v19
	v_add_f32_e32 v27, v19, v14
	v_sub_f32_e32 v36, v83, v85
	v_add_f32_e32 v38, v83, v85
	v_sub_f32_e32 v49, v19, v14
	v_add_f32_e32 v17, v69, v117
	v_add_f32_e32 v48, v117, v121
	v_sub_f32_e32 v50, v118, v119
	v_add_f32_e32 v19, v70, v118
	v_add_f32_e32 v51, v118, v119
	;; [unrolled: 1-line block ×7, first 2 shown]
	v_sub_f32_e32 v56, v117, v121
	v_sub_f32_e32 v75, v80, v79
	;; [unrolled: 1-line block ×3, first 2 shown]
	v_add_f32_e32 v22, v4, v28
	v_add_f32_e32 v81, v28, v29
	v_sub_f32_e32 v82, v84, v47
	v_add_f32_e32 v84, v84, v47
	v_sub_f32_e32 v87, v28, v29
	v_add_f32_e32 v28, v6, v30
	v_add_f32_e32 v88, v30, v26
	v_sub_f32_e32 v89, v86, v90
	v_add_f32_e32 v86, v86, v90
	v_add_f32_e32 v95, v94, v25
	;; [unrolled: 1-line block ×3, first 2 shown]
	v_sub_f32_e32 v100, v76, v78
	v_add_f32_e32 v101, v11, v76
	v_add_f32_e32 v76, v76, v78
	;; [unrolled: 1-line block ×4, first 2 shown]
	v_sub_f32_e32 v109, v37, v39
	v_add_f32_e32 v110, v1, v37
	v_add_f32_e32 v37, v37, v39
	v_sub_f32_e32 v114, v12, v23
	v_sub_f32_e32 v117, v24, v16
	;; [unrolled: 1-line block ×3, first 2 shown]
	v_add_f32_e32 v12, v13, v14
	v_add_f32_e32 v14, v17, v121
	;; [unrolled: 1-line block ×4, first 2 shown]
	v_fma_f32 v54, -0.5, v27, v54
	v_fmac_f32_e32 v55, -0.5, v38
	v_fma_f32 v69, -0.5, v48, v69
	v_fma_f32 v47, -0.5, v116, v52
	v_fma_f32 v48, -0.5, v118, v53
	v_fmac_f32_e32 v70, -0.5, v51
	v_add_f32_e32 v30, v8, v94
	v_fma_f32 v58, -0.5, v57, v58
	v_fmac_f32_e32 v59, -0.5, v77
	v_sub_f32_e32 v94, v94, v25
	v_add_f32_e32 v98, v10, v18
	v_sub_f32_e32 v102, v18, v31
	v_add_f32_e32 v13, v15, v85
	v_add_f32_e32 v18, v21, v79
	;; [unrolled: 1-line block ×3, first 2 shown]
	v_fma_f32 v4, -0.5, v81, v4
	v_fma_f32 v5, -0.5, v84, v5
	;; [unrolled: 1-line block ×3, first 2 shown]
	v_fmac_f32_e32 v7, -0.5, v86
	v_fma_f32 v8, -0.5, v95, v8
	v_add_f32_e32 v26, v97, v35
	v_fma_f32 v10, -0.5, v99, v10
	v_fmac_f32_e32 v11, -0.5, v76
	v_fma_f32 v0, -0.5, v108, v0
	v_fmac_f32_e32 v1, -0.5, v37
	v_fmamk_f32 v34, v36, 0x3f5db3d7, v54
	v_fmac_f32_e32 v54, 0xbf5db3d7, v36
	v_fmamk_f32 v35, v49, 0xbf5db3d7, v55
	v_fmac_f32_e32 v55, 0x3f5db3d7, v49
	;; [unrolled: 2-line block ×5, first 2 shown]
	v_add_f32_e32 v15, v19, v119
	v_fmamk_f32 v37, v56, 0xbf5db3d7, v70
	v_fmac_f32_e32 v70, 0x3f5db3d7, v56
	v_add_f32_e32 v25, v30, v25
	v_add_f32_e32 v30, v110, v39
	v_fmamk_f32 v38, v75, 0x3f5db3d7, v58
	v_fmamk_f32 v39, v80, 0xbf5db3d7, v59
	v_add_f32_e32 v19, v22, v29
	v_add_f32_e32 v22, v91, v90
	;; [unrolled: 1-line block ×5, first 2 shown]
	v_fmac_f32_e32 v58, 0xbf5db3d7, v75
	v_fmac_f32_e32 v59, 0x3f5db3d7, v80
	v_fmamk_f32 v56, v82, 0x3f5db3d7, v4
	v_fmac_f32_e32 v4, 0xbf5db3d7, v82
	v_fmamk_f32 v57, v87, 0xbf5db3d7, v5
	;; [unrolled: 2-line block ×10, first 2 shown]
	v_fmac_f32_e32 v1, 0x3f5db3d7, v114
	ds_write2_b64 v111, v[12:13], v[34:35] offset1:10
	ds_write_b64 v111, v[54:55] offset:160
	ds_write2_b64 v113, v[14:15], v[36:37] offset1:10
	ds_write_b64 v113, v[69:70] offset:160
	;; [unrolled: 2-line block ×8, first 2 shown]
	s_and_saveexec_b32 s2, s1
	s_cbranch_execz .LBB0_19
; %bb.18:
	v_mul_lo_u16 v0, v72, 30
	v_add_f32_e32 v1, v53, v24
	v_add_f32_e32 v3, v52, v3
	v_lshlrev_b32_sdwa v4, v61, v33 dst_sel:DWORD dst_unused:UNUSED_PAD src0_sel:DWORD src1_sel:WORD_0
	v_lshlrev_b32_sdwa v5, v61, v0 dst_sel:DWORD dst_unused:UNUSED_PAD src0_sel:DWORD src1_sel:WORD_0
	v_add_f32_e32 v1, v1, v16
	v_add_f32_e32 v0, v3, v2
	v_add3_u32 v2, 0, v4, v5
	ds_write2_b64 v2, v[0:1], v[49:50] offset1:10
	ds_write_b64 v2, v[47:48] offset:160
.LBB0_19:
	s_or_b32 exec_lo, exec_lo, s2
	v_mul_lo_u16 v0, 0x89, v71
	v_mul_lo_u16 v1, 0x89, v43
	v_mov_b32_e32 v5, 0x8889
	v_mov_b32_e32 v4, 5
	s_waitcnt lgkmcnt(0)
	v_lshrrev_b16 v13, 12, v0
	v_lshrrev_b16 v12, 12, v1
	v_mul_u32_u24_sdwa v8, v68, v5 dst_sel:DWORD dst_unused:UNUSED_PAD src0_sel:WORD_0 src1_sel:DWORD
	v_mul_u32_u24_sdwa v9, v46, v5 dst_sel:DWORD dst_unused:UNUSED_PAD src0_sel:WORD_0 src1_sel:DWORD
	;; [unrolled: 1-line block ×3, first 2 shown]
	v_mul_lo_u16 v0, v13, 30
	v_mul_lo_u16 v1, v12, 30
	v_lshrrev_b32_e32 v20, 20, v8
	v_lshrrev_b32_e32 v22, 20, v9
	v_lshrrev_b32_e32 v24, 20, v5
	v_sub_nc_u16 v15, v60, v0
	v_sub_nc_u16 v14, v66, v1
	v_mul_lo_u16 v8, v20, 30
	v_mul_lo_u16 v5, v22, 30
	s_barrier
	v_lshlrev_b32_sdwa v6, v4, v15 dst_sel:DWORD dst_unused:UNUSED_PAD src0_sel:DWORD src1_sel:BYTE_0
	v_lshlrev_b32_sdwa v7, v4, v14 dst_sel:DWORD dst_unused:UNUSED_PAD src0_sel:DWORD src1_sel:BYTE_0
	buffer_gl0_inv
	v_sub_nc_u16 v27, v68, v8
	v_sub_nc_u16 v26, v46, v5
	s_clause 0x2
	global_load_dwordx4 v[0:3], v6, s[12:13] offset:160
	global_load_dwordx4 v[52:55], v6, s[12:13] offset:176
	;; [unrolled: 1-line block ×3, first 2 shown]
	v_mul_lo_u16 v5, v24, 30
	v_lshlrev_b32_sdwa v6, v4, v27 dst_sel:DWORD dst_unused:UNUSED_PAD src0_sel:DWORD src1_sel:WORD_0
	global_load_dwordx4 v[69:72], v7, s[12:13] offset:176
	v_add_nc_u32_e32 v43, 0xc00, v73
	v_add_nc_u32_e32 v18, 0x1800, v73
	v_sub_nc_u16 v25, v45, v5
	global_load_dwordx4 v[75:78], v6, s[12:13] offset:160
	v_lshlrev_b32_sdwa v7, v4, v26 dst_sel:DWORD dst_unused:UNUSED_PAD src0_sel:DWORD src1_sel:WORD_0
	v_add_nc_u32_e32 v16, 0x1c00, v73
	v_add_nc_u32_e32 v23, 0x1000, v73
	v_lshlrev_b32_sdwa v4, v4, v25 dst_sel:DWORD dst_unused:UNUSED_PAD src0_sel:DWORD src1_sel:WORD_0
	v_add_nc_u32_e32 v21, 0x2800, v73
	s_clause 0x4
	global_load_dwordx4 v[87:90], v7, s[12:13] offset:160
	global_load_dwordx4 v[91:94], v4, s[12:13] offset:160
	;; [unrolled: 1-line block ×5, first 2 shown]
	ds_read2_b64 v[79:82], v43 offset0:66 offset1:156
	ds_read2_b64 v[107:110], v18 offset0:42 offset1:132
	v_add_nc_u32_e32 v4, 0x2000, v73
	v_add_nc_u32_e32 v17, 0x3400, v73
	;; [unrolled: 1-line block ×6, first 2 shown]
	ds_read2_b64 v[29:32], v16 offset0:94 offset1:184
	ds_read2_b64 v[111:114], v23 offset0:118 offset1:208
	;; [unrolled: 1-line block ×8, first 2 shown]
	ds_read_b64 v[8:9], v73
	ds_read_b64 v[4:5], v74
	;; [unrolled: 1-line block ×3, first 2 shown]
	v_add_nc_u32_e32 v19, 0x800, v73
	v_lshlrev_b32_sdwa v15, v61, v15 dst_sel:DWORD dst_unused:UNUSED_PAD src0_sel:DWORD src1_sel:BYTE_0
	v_lshlrev_b32_sdwa v14, v61, v14 dst_sel:DWORD dst_unused:UNUSED_PAD src0_sel:DWORD src1_sel:BYTE_0
	s_waitcnt vmcnt(9) lgkmcnt(12)
	v_mul_f32_e32 v10, v1, v80
	v_mul_f32_e32 v11, v1, v79
	s_waitcnt lgkmcnt(11)
	v_mul_f32_e32 v1, v3, v110
	v_mul_f32_e32 v139, v3, v109
	s_waitcnt vmcnt(7)
	v_mul_f32_e32 v3, v82, v34
	v_mul_f32_e32 v140, v81, v34
	s_waitcnt lgkmcnt(10)
	v_mul_f32_e32 v34, v30, v36
	v_fma_f32 v10, v0, v79, -v10
	v_fmac_f32_e32 v139, v2, v110
	v_mul_f32_e32 v110, v29, v36
	v_fmac_f32_e32 v11, v0, v80
	v_fma_f32 v142, v29, v35, -v34
	s_waitcnt lgkmcnt(6)
	v_mul_f32_e32 v29, v126, v55
	v_fma_f32 v109, v2, v109, -v1
	v_fma_f32 v141, v81, v33, -v3
	v_fmac_f32_e32 v140, v82, v33
	ds_read2_b64 v[0:3], v19 offset0:14 offset1:104
	v_mul_f32_e32 v33, v120, v53
	v_fma_f32 v56, v125, v54, -v29
	s_waitcnt vmcnt(6) lgkmcnt(6)
	v_mul_f32_e32 v29, v128, v72
	s_waitcnt vmcnt(5)
	v_mul_f32_e32 v34, v112, v76
	v_mul_f32_e32 v85, v119, v53
	v_fmac_f32_e32 v110, v30, v35
	v_mul_f32_e32 v51, v125, v55
	v_mul_f32_e32 v30, v122, v70
	;; [unrolled: 1-line block ×3, first 2 shown]
	v_fma_f32 v119, v119, v52, -v33
	v_mul_f32_e32 v55, v127, v72
	v_mul_f32_e32 v33, v32, v78
	v_mul_f32_e32 v67, v31, v78
	v_mul_f32_e32 v80, v111, v76
	s_waitcnt vmcnt(4)
	v_mul_f32_e32 v35, v114, v88
	v_fma_f32 v58, v127, v71, -v29
	v_mul_f32_e32 v36, v116, v90
	s_waitcnt vmcnt(3)
	v_mul_f32_e32 v39, v108, v92
	v_mul_f32_e32 v29, v107, v92
	v_fma_f32 v82, v111, v75, -v34
	s_waitcnt vmcnt(2) lgkmcnt(5)
	v_mul_f32_e32 v34, v132, v96
	v_mul_f32_e32 v53, v131, v96
	v_fmac_f32_e32 v85, v120, v52
	v_fmac_f32_e32 v51, v126, v54
	v_fma_f32 v86, v121, v69, -v30
	v_fmac_f32_e32 v83, v122, v69
	v_mul_f32_e32 v81, v113, v88
	v_fmac_f32_e32 v55, v128, v71
	v_mul_f32_e32 v57, v115, v90
	v_fma_f32 v71, v31, v77, -v33
	v_fmac_f32_e32 v67, v32, v77
	v_mul_f32_e32 v33, v118, v94
	v_mul_f32_e32 v30, v117, v94
	;; [unrolled: 1-line block ×4, first 2 shown]
	v_fmac_f32_e32 v80, v112, v75
	s_waitcnt vmcnt(1)
	v_mul_f32_e32 v70, v134, v100
	v_mul_f32_e32 v54, v133, v100
	v_fma_f32 v84, v113, v87, -v35
	s_waitcnt lgkmcnt(4)
	v_mul_f32_e32 v75, v136, v102
	v_mul_f32_e32 v38, v135, v102
	v_fma_f32 v72, v115, v89, -v36
	s_waitcnt vmcnt(0)
	v_mul_f32_e32 v36, v138, v106
	v_mul_f32_e32 v32, v137, v106
	v_fma_f32 v35, v107, v91, -v39
	v_fmac_f32_e32 v29, v108, v91
	v_fma_f32 v69, v131, v95, -v34
	v_fmac_f32_e32 v53, v132, v95
	v_sub_f32_e32 v90, v10, v109
	v_sub_f32_e32 v91, v56, v119
	s_waitcnt lgkmcnt(3)
	v_add_f32_e32 v95, v9, v11
	v_fmac_f32_e32 v81, v114, v87
	v_mul_f32_e32 v76, v124, v104
	v_mul_f32_e32 v31, v123, v104
	v_fmac_f32_e32 v57, v116, v89
	v_fma_f32 v33, v117, v93, -v33
	v_fmac_f32_e32 v30, v118, v93
	v_fma_f32 v52, v129, v97, -v52
	v_fmac_f32_e32 v37, v130, v97
	v_fma_f32 v70, v133, v99, -v70
	v_fmac_f32_e32 v54, v134, v99
	v_fma_f32 v39, v135, v101, -v75
	v_fmac_f32_e32 v38, v136, v101
	v_fma_f32 v36, v137, v105, -v36
	v_fmac_f32_e32 v32, v138, v105
	v_add_f32_e32 v88, v8, v10
	v_add_f32_e32 v89, v109, v119
	v_sub_f32_e32 v75, v11, v51
	v_add_f32_e32 v92, v10, v56
	v_sub_f32_e32 v93, v109, v10
	v_sub_f32_e32 v94, v119, v56
	v_add_f32_e32 v96, v139, v85
	v_sub_f32_e32 v77, v10, v56
	v_sub_f32_e32 v10, v11, v139
	;; [unrolled: 1-line block ×3, first 2 shown]
	v_add_f32_e32 v98, v11, v51
	v_sub_f32_e32 v11, v139, v11
	v_sub_f32_e32 v99, v85, v51
	;; [unrolled: 1-line block ×4, first 2 shown]
	s_waitcnt lgkmcnt(1)
	v_add_f32_e32 v107, v7, v140
	v_add_f32_e32 v108, v110, v83
	;; [unrolled: 1-line block ×4, first 2 shown]
	v_fma_f32 v34, v123, v103, -v76
	v_fmac_f32_e32 v31, v124, v103
	v_sub_f32_e32 v76, v139, v85
	v_sub_f32_e32 v78, v109, v119
	v_add_f32_e32 v100, v6, v141
	v_add_f32_e32 v101, v142, v86
	v_sub_f32_e32 v79, v110, v83
	v_sub_f32_e32 v102, v141, v142
	;; [unrolled: 1-line block ×7, first 2 shown]
	v_add_f32_e32 v109, v88, v109
	v_fma_f32 v88, -0.5, v89, v8
	v_fma_f32 v8, -0.5, v92, v8
	v_add_f32_e32 v120, v93, v94
	v_fma_f32 v89, -0.5, v96, v9
	v_add_f32_e32 v96, v10, v97
	v_add_f32_e32 v97, v11, v99
	;; [unrolled: 1-line block ×4, first 2 shown]
	v_fma_f32 v11, -0.5, v108, v7
	v_add_f32_e32 v93, v4, v82
	v_add_f32_e32 v106, v5, v80
	v_sub_f32_e32 v108, v80, v67
	v_sub_f32_e32 v110, v37, v53
	v_add_f32_e32 v123, v72, v70
	v_sub_f32_e32 v125, v81, v57
	v_sub_f32_e32 v126, v38, v54
	v_add_f32_e32 v131, v90, v85
	s_waitcnt lgkmcnt(0)
	v_add_f32_e32 v85, v0, v84
	v_add_f32_e32 v104, v141, v58
	;; [unrolled: 1-line block ×3, first 2 shown]
	v_sub_f32_e32 v116, v140, v55
	v_fmac_f32_e32 v9, -0.5, v98
	v_add_f32_e32 v91, v100, v142
	v_add_f32_e32 v98, v102, v103
	v_fma_f32 v10, -0.5, v101, v6
	v_add_f32_e32 v100, v111, v112
	v_add_f32_e32 v101, v114, v115
	;; [unrolled: 1-line block ×6, first 2 shown]
	v_sub_f32_e32 v112, v67, v80
	v_sub_f32_e32 v114, v84, v72
	;; [unrolled: 1-line block ×6, first 2 shown]
	v_add_f32_e32 v108, v108, v110
	v_add_f32_e32 v110, v33, v34
	v_fma_f32 v80, -0.5, v123, v0
	v_add_f32_e32 v123, v125, v126
	v_add_f32_e32 v126, v93, v71
	;; [unrolled: 1-line block ×4, first 2 shown]
	v_fmamk_f32 v72, v77, 0xbf737871, v89
	v_fmac_f32_e32 v89, 0x3f737871, v77
	v_sub_f32_e32 v87, v142, v86
	v_fma_f32 v6, -0.5, v104, v6
	v_fmac_f32_e32 v7, -0.5, v113
	v_sub_f32_e32 v95, v82, v71
	v_sub_f32_e32 v102, v52, v69
	;; [unrolled: 1-line block ×7, first 2 shown]
	v_add_f32_e32 v127, v84, v39
	v_add_f32_e32 v133, v91, v86
	;; [unrolled: 1-line block ×3, first 2 shown]
	v_fma_f32 v83, -0.5, v94, v4
	v_fma_f32 v4, -0.5, v103, v4
	v_add_f32_e32 v103, v1, v81
	v_sub_f32_e32 v138, v84, v39
	v_fma_f32 v84, -0.5, v107, v5
	v_add_f32_e32 v107, v2, v35
	v_fmac_f32_e32 v5, -0.5, v111
	v_sub_f32_e32 v111, v29, v32
	v_fmamk_f32 v86, v78, 0x3f737871, v9
	v_fmac_f32_e32 v9, 0xbf737871, v78
	v_add_f32_e32 v91, v131, v51
	v_fmamk_f32 v92, v116, 0x3f737871, v10
	v_fmac_f32_e32 v10, 0xbf737871, v116
	v_fma_f32 v51, -0.5, v110, v2
	v_fmac_f32_e32 v72, 0xbf167918, v78
	v_fmac_f32_e32 v89, 0x3f167918, v78
	v_add_f32_e32 v78, v126, v69
	v_add_f32_e32 v124, v57, v54
	v_sub_f32_e32 v129, v57, v81
	v_add_f32_e32 v102, v95, v102
	v_add_f32_e32 v104, v104, v105
	v_sub_f32_e32 v105, v57, v54
	v_add_f32_e32 v112, v112, v113
	v_sub_f32_e32 v113, v30, v31
	;; [unrolled: 2-line block ×4, first 2 shown]
	v_add_f32_e32 v95, v134, v55
	v_fmamk_f32 v55, v79, 0xbf737871, v6
	v_fmac_f32_e32 v6, 0x3f737871, v79
	v_add_f32_e32 v57, v103, v57
	v_add_f32_e32 v103, v107, v33
	v_fmac_f32_e32 v86, 0xbf167918, v77
	v_fmac_f32_e32 v9, 0x3f167918, v77
	;; [unrolled: 1-line block ×4, first 2 shown]
	v_add_f32_e32 v67, v67, v53
	v_add_f32_e32 v79, v106, v70
	v_fmamk_f32 v77, v111, 0x3f737871, v51
	v_fmac_f32_e32 v72, 0x3e9e377a, v96
	v_fmac_f32_e32 v89, 0x3e9e377a, v96
	v_add_f32_e32 v96, v78, v52
	v_fmac_f32_e32 v51, 0xbf737871, v111
	v_add_f32_e32 v78, v3, v29
	v_sub_f32_e32 v82, v82, v52
	v_add_f32_e32 v103, v103, v34
	v_fmac_f32_e32 v86, 0x3e9e377a, v97
	v_fmac_f32_e32 v9, 0x3e9e377a, v97
	v_add_f32_e32 v97, v67, v37
	v_add_f32_e32 v37, v79, v39
	v_fmac_f32_e32 v77, 0x3f167918, v113
	v_add_f32_e32 v39, v115, v122
	v_sub_f32_e32 v52, v33, v35
	v_sub_f32_e32 v67, v34, v36
	v_fmac_f32_e32 v51, 0xbf167918, v113
	v_add_f32_e32 v79, v30, v31
	v_add_f32_e32 v78, v78, v30
	v_sub_f32_e32 v117, v141, v58
	v_add_f32_e32 v109, v109, v119
	v_add_f32_e32 v128, v81, v38
	v_sub_f32_e32 v119, v71, v69
	v_sub_f32_e32 v137, v81, v38
	v_fma_f32 v81, -0.5, v124, v1
	v_add_f32_e32 v124, v35, v36
	v_fmamk_f32 v71, v75, 0x3f737871, v88
	v_fmamk_f32 v85, v76, 0xbf737871, v8
	v_fmac_f32_e32 v8, 0x3f737871, v76
	v_fmac_f32_e32 v92, 0x3e9e377a, v98
	;; [unrolled: 1-line block ×3, first 2 shown]
	v_add_f32_e32 v98, v103, v36
	v_fmac_f32_e32 v77, 0x3e9e377a, v39
	v_add_f32_e32 v67, v52, v67
	v_fma_f32 v52, -0.5, v79, v3
	v_sub_f32_e32 v35, v35, v36
	v_fmac_f32_e32 v51, 0x3e9e377a, v39
	v_add_f32_e32 v36, v78, v31
	v_add_f32_e32 v39, v29, v32
	v_sub_f32_e32 v33, v33, v34
	v_sub_f32_e32 v34, v29, v30
	;; [unrolled: 1-line block ×5, first 2 shown]
	v_mov_b32_e32 v31, 0x4b0
	v_fmac_f32_e32 v88, 0xbf737871, v75
	v_fmamk_f32 v93, v117, 0xbf737871, v11
	v_add_f32_e32 v90, v109, v56
	v_fmamk_f32 v56, v87, 0x3f737871, v7
	v_fmac_f32_e32 v7, 0xbf737871, v87
	v_fmac_f32_e32 v11, 0x3f737871, v117
	;; [unrolled: 1-line block ×5, first 2 shown]
	v_mul_u32_u24_sdwa v13, v13, v31 dst_sel:DWORD dst_unused:UNUSED_PAD src0_sel:WORD_0 src1_sel:DWORD
	v_fmac_f32_e32 v88, 0xbf167918, v76
	v_fmac_f32_e32 v93, 0xbf167918, v87
	v_mul_u32_u24_sdwa v12, v12, v31 dst_sel:DWORD dst_unused:UNUSED_PAD src0_sel:WORD_0 src1_sel:DWORD
	v_fma_f32 v0, -0.5, v127, v0
	v_fma_f32 v1, -0.5, v128, v1
	v_fmac_f32_e32 v55, 0x3f167918, v116
	v_fmac_f32_e32 v6, 0xbf167918, v116
	;; [unrolled: 1-line block ×4, first 2 shown]
	v_sub_f32_e32 v130, v54, v38
	v_fmac_f32_e32 v11, 0x3f167918, v87
	v_add_f32_e32 v87, v57, v54
	v_fmamk_f32 v53, v136, 0x3f737871, v83
	v_fmamk_f32 v54, v82, 0xbf737871, v84
	v_fmac_f32_e32 v71, 0x3e9e377a, v118
	v_fmac_f32_e32 v85, 0x3e9e377a, v120
	;; [unrolled: 1-line block ×3, first 2 shown]
	v_add3_u32 v13, 0, v13, v15
	v_add_f32_e32 v94, v133, v58
	v_fmac_f32_e32 v83, 0xbf737871, v136
	v_fmamk_f32 v57, v132, 0xbf737871, v4
	v_fmac_f32_e32 v4, 0x3f737871, v132
	v_fmac_f32_e32 v84, 0x3f737871, v82
	v_fmamk_f32 v58, v119, 0x3f737871, v5
	v_fmac_f32_e32 v5, 0xbf737871, v119
	v_fmac_f32_e32 v88, 0x3e9e377a, v118
	v_fma_f32 v2, -0.5, v124, v2
	v_fmac_f32_e32 v3, -0.5, v39
	v_fmamk_f32 v69, v137, 0x3f737871, v80
	v_fmamk_f32 v70, v138, 0xbf737871, v81
	v_fmac_f32_e32 v93, 0x3e9e377a, v100
	v_add3_u32 v12, 0, v12, v14
	v_fmamk_f32 v75, v105, 0xbf737871, v0
	v_fmac_f32_e32 v0, 0x3f737871, v105
	v_fmamk_f32 v76, v135, 0x3f737871, v1
	v_fmac_f32_e32 v1, 0xbf737871, v135
	v_fmac_f32_e32 v55, 0x3e9e377a, v99
	;; [unrolled: 1-line block ×9, first 2 shown]
	v_fmamk_f32 v78, v35, 0xbf737871, v52
	s_barrier
	buffer_gl0_inv
	ds_write2_b64 v13, v[90:91], v[71:72] offset1:30
	ds_write2_b64 v13, v[85:86], v[8:9] offset0:60 offset1:90
	ds_write_b64 v13, v[88:89] offset:960
	v_mul_u32_u24_e32 v8, 0x4b0, v20
	v_lshlrev_b32_sdwa v9, v61, v27 dst_sel:DWORD dst_unused:UNUSED_PAD src0_sel:DWORD src1_sel:WORD_0
	v_fmac_f32_e32 v11, 0x3e9e377a, v100
	v_fmac_f32_e32 v83, 0xbf167918, v132
	;; [unrolled: 1-line block ×7, first 2 shown]
	v_fmamk_f32 v100, v113, 0xbf737871, v2
	v_fmac_f32_e32 v2, 0x3f737871, v113
	v_fmac_f32_e32 v52, 0x3f737871, v35
	v_fmamk_f32 v101, v33, 0x3f737871, v3
	v_fmac_f32_e32 v3, 0xbf737871, v33
	v_fmac_f32_e32 v69, 0x3f167918, v105
	v_fmac_f32_e32 v70, 0xbf167918, v135
	ds_write2_b64 v12, v[94:95], v[92:93] offset1:30
	ds_write2_b64 v12, v[55:56], v[6:7] offset0:60 offset1:90
	v_mul_u32_u24_e32 v6, 0x4b0, v22
	v_lshlrev_b32_sdwa v7, v61, v26 dst_sel:DWORD dst_unused:UNUSED_PAD src0_sel:DWORD src1_sel:WORD_0
	v_add_f32_e32 v125, v129, v130
	v_fmac_f32_e32 v75, 0x3f167918, v137
	v_fmac_f32_e32 v0, 0xbf167918, v137
	;; [unrolled: 1-line block ×9, first 2 shown]
	v_add_f32_e32 v34, v34, v79
	v_add3_u32 v8, 0, v8, v9
	v_mul_u32_u24_e32 v9, 0x4b0, v24
	v_lshlrev_b32_sdwa v13, v61, v25 dst_sel:DWORD dst_unused:UNUSED_PAD src0_sel:DWORD src1_sel:WORD_0
	v_fmac_f32_e32 v83, 0x3e9e377a, v102
	v_fmac_f32_e32 v57, 0x3e9e377a, v104
	;; [unrolled: 1-line block ×10, first 2 shown]
	v_add_f32_e32 v29, v29, v30
	v_fmac_f32_e32 v3, 0x3f167918, v35
	v_add_f32_e32 v38, v87, v38
	v_fmac_f32_e32 v69, 0x3e9e377a, v114
	v_fmac_f32_e32 v70, 0x3e9e377a, v123
	v_add3_u32 v6, 0, v6, v7
	v_fmac_f32_e32 v75, 0x3e9e377a, v121
	v_fmac_f32_e32 v0, 0x3e9e377a, v121
	;; [unrolled: 1-line block ×6, first 2 shown]
	v_add_f32_e32 v99, v36, v32
	v_fmac_f32_e32 v78, 0x3e9e377a, v34
	ds_write_b64 v12, v[10:11] offset:960
	ds_write2_b64 v8, v[96:97], v[53:54] offset1:30
	ds_write2_b64 v8, v[57:58], v[4:5] offset0:60 offset1:90
	v_add3_u32 v4, 0, v9, v13
	v_fmac_f32_e32 v100, 0x3e9e377a, v67
	v_fmac_f32_e32 v2, 0x3e9e377a, v67
	;; [unrolled: 1-line block ×5, first 2 shown]
	ds_write_b64 v8, v[83:84] offset:960
	ds_write2_b64 v6, v[37:38], v[69:70] offset1:30
	ds_write2_b64 v6, v[75:76], v[0:1] offset0:60 offset1:90
	ds_write_b64 v6, v[80:81] offset:960
	ds_write2_b64 v4, v[98:99], v[77:78] offset1:30
	ds_write2_b64 v4, v[100:101], v[2:3] offset0:60 offset1:90
	ds_write_b64 v4, v[51:52] offset:960
	v_add_nc_u32_e32 v4, 0x3000, v73
	s_waitcnt lgkmcnt(0)
	s_barrier
	buffer_gl0_inv
	ds_read_b64 v[69:70], v73
	ds_read2_b64 v[0:3], v23 offset0:118 offset1:238
	ds_read2_b64 v[12:15], v21 offset0:100 offset1:220
	ds_read2_b64 v[36:39], v18 offset0:72 offset1:162
	ds_read2_b64 v[32:35], v4 offset0:54 offset1:144
	v_add_nc_u32_e32 v18, 0x2400, v73
	ds_read2_b64 v[8:11], v19 offset0:14 offset1:104
	ds_read2_b64 v[24:27], v16 offset0:124 offset1:214
	;; [unrolled: 1-line block ×6, first 2 shown]
	ds_read_b64 v[57:58], v59
	ds_read_b64 v[55:56], v74
	ds_read_b64 v[71:72], v73 offset:17040
	s_and_saveexec_b32 s2, s1
	s_cbranch_execz .LBB0_21
; %bb.20:
	ds_read_b64 v[51:52], v73 offset:5760
	ds_read_b64 v[49:50], v73 offset:11760
	;; [unrolled: 1-line block ×3, first 2 shown]
.LBB0_21:
	s_or_b32 exec_lo, exec_lo, s2
	v_subrev_nc_u32_e32 v61, 60, v60
	v_cmp_gt_u32_e64 s2, 60, v60
	v_lshlrev_b32_e32 v53, 1, v60
	v_mov_b32_e32 v54, 0
	v_lshrrev_b16 v88, 1, v45
	v_lshrrev_b16 v83, 1, v46
	v_cndmask_b32_e64 v67, v61, v66, s2
	v_mov_b32_e32 v61, 0xda75
	v_lshlrev_b64 v[75:76], 3, v[53:54]
	v_add_nc_u32_e32 v53, 60, v53
	v_lshrrev_b16 v92, 1, v42
	v_lshrrev_b16 v97, 1, v44
	v_mul_u32_u24_sdwa v93, v88, v61 dst_sel:DWORD dst_unused:UNUSED_PAD src0_sel:WORD_0 src1_sel:DWORD
	v_lshlrev_b32_e32 v79, 1, v67
	v_lshlrev_b64 v[81:82], 3, v[53:54]
	v_mul_u32_u24_sdwa v53, v83, v61 dst_sel:DWORD dst_unused:UNUSED_PAD src0_sel:WORD_0 src1_sel:DWORD
	v_lshrrev_b16 v83, 1, v41
	v_lshrrev_b32_e32 v96, 22, v93
	v_mul_u32_u24_sdwa v95, v92, v61 dst_sel:DWORD dst_unused:UNUSED_PAD src0_sel:WORD_0 src1_sel:DWORD
	v_mul_u32_u24_sdwa v97, v97, v61 dst_sel:DWORD dst_unused:UNUSED_PAD src0_sel:WORD_0 src1_sel:DWORD
	v_lshrrev_b32_e32 v53, 22, v53
	v_mul_u32_u24_sdwa v85, v83, v61 dst_sel:DWORD dst_unused:UNUSED_PAD src0_sel:WORD_0 src1_sel:DWORD
	v_mul_lo_u16 v96, 0x96, v96
	v_lshrrev_b32_e32 v95, 22, v95
	v_mov_b32_e32 v80, v54
	v_add_co_u32 v75, s2, s12, v75
	v_mul_lo_u16 v87, 0x96, v53
	v_lshrrev_b32_e32 v107, 22, v85
	v_sub_nc_u16 v96, v45, v96
	v_lshrrev_b32_e32 v97, 22, v97
	v_add_co_ci_u32_e64 v76, s2, s13, v76, s2
	v_mul_lo_u16 v95, 0x96, v95
	v_lshlrev_b64 v[79:80], 3, v[79:80]
	v_add_co_u32 v81, s2, s12, v81
	v_sub_nc_u16 v108, v46, v87
	v_mul_lo_u16 v87, 0x96, v107
	v_and_b32_e32 v110, 0xffff, v96
	v_mul_lo_u16 v96, 0x96, v97
	global_load_dwordx4 v[75:78], v[75:76], off offset:1120
	v_add_co_ci_u32_e64 v82, s2, s13, v82, s2
	v_mov_b32_e32 v91, 4
	v_sub_nc_u16 v95, v42, v95
	v_add_co_u32 v83, s2, s12, v79
	v_sub_nc_u16 v109, v41, v87
	v_sub_nc_u16 v99, v44, v96
	v_add_co_ci_u32_e64 v84, s2, s13, v80, s2
	global_load_dwordx4 v[79:82], v[81:82], off offset:1120
	v_lshlrev_b32_sdwa v89, v91, v108 dst_sel:DWORD dst_unused:UNUSED_PAD src0_sel:DWORD src1_sel:WORD_0
	v_and_b32_e32 v111, 0xffff, v95
	global_load_dwordx4 v[83:86], v[83:84], off offset:1120
	v_lshlrev_b32_sdwa v91, v91, v109 dst_sel:DWORD dst_unused:UNUSED_PAD src0_sel:DWORD src1_sel:WORD_0
	v_and_b32_e32 v112, 0xffff, v99
	global_load_dwordx4 v[87:90], v89, s[12:13] offset:1120
	v_lshlrev_b32_e32 v95, 4, v110
	v_lshlrev_b32_e32 v100, 4, v111
	global_load_dwordx4 v[91:94], v91, s[12:13] offset:1120
	v_lshlrev_b32_e32 v103, 4, v112
	v_cmp_lt_u32_e64 s2, 59, v60
	s_clause 0x1
	global_load_dwordx4 v[95:98], v95, s[12:13] offset:1120
	global_load_dwordx4 v[99:102], v100, s[12:13] offset:1120
	v_mov_b32_e32 v113, 3
	global_load_dwordx4 v[103:106], v103, s[12:13] offset:1120
	v_cndmask_b32_e64 v114, 0, 0xe10, s2
	v_lshlrev_b32_e32 v67, 3, v67
	v_mul_u32_u24_e32 v53, 0xe10, v53
	v_lshlrev_b32_sdwa v108, v113, v108 dst_sel:DWORD dst_unused:UNUSED_PAD src0_sel:DWORD src1_sel:WORD_0
	v_lshlrev_b32_sdwa v109, v113, v109 dst_sel:DWORD dst_unused:UNUSED_PAD src0_sel:DWORD src1_sel:WORD_0
	s_waitcnt vmcnt(0) lgkmcnt(0)
	v_add3_u32 v67, 0, v114, v67
	s_barrier
	buffer_gl0_inv
	v_mul_u32_u24_e32 v107, 0xe10, v107
	v_add3_u32 v53, 0, v53, v108
	v_lshl_add_u32 v108, v110, 3, 0
	v_lshl_add_u32 v110, v111, 3, 0
	v_add3_u32 v107, 0, v107, v109
	v_lshl_add_u32 v109, v112, 3, 0
	v_add_nc_u32_e32 v111, 0x1c00, v108
	v_add_nc_u32_e32 v112, 0x2800, v110
	;; [unrolled: 1-line block ×3, first 2 shown]
	v_mul_f32_e32 v113, v76, v3
	v_mul_f32_e32 v76, v76, v2
	v_mul_f32_e32 v114, v78, v15
	v_mul_f32_e32 v78, v78, v14
	v_fma_f32 v2, v75, v2, -v113
	v_fmac_f32_e32 v76, v75, v3
	v_fma_f32 v3, v77, v14, -v114
	v_fmac_f32_e32 v78, v77, v15
	v_mul_f32_e32 v14, v80, v39
	v_mul_f32_e32 v15, v80, v38
	;; [unrolled: 1-line block ×8, first 2 shown]
	v_fma_f32 v14, v79, v38, -v14
	v_fmac_f32_e32 v15, v79, v39
	v_fma_f32 v34, v81, v34, -v75
	v_fmac_f32_e32 v77, v81, v35
	v_add_f32_e32 v35, v69, v2
	v_sub_f32_e32 v39, v76, v78
	v_add_f32_e32 v75, v70, v76
	v_add_f32_e32 v76, v76, v78
	v_mul_f32_e32 v81, v88, v25
	v_mul_f32_e32 v88, v88, v24
	;; [unrolled: 1-line block ×4, first 2 shown]
	v_add_f32_e32 v38, v2, v3
	v_mul_f32_e32 v114, v19, v92
	v_mul_f32_e32 v92, v18, v92
	;; [unrolled: 1-line block ×4, first 2 shown]
	v_sub_f32_e32 v79, v2, v3
	v_fma_f32 v36, v83, v36, -v80
	v_fmac_f32_e32 v82, v83, v37
	v_fma_f32 v32, v85, v32, -v84
	v_fmac_f32_e32 v86, v85, v33
	v_add_f32_e32 v2, v35, v3
	v_add_f32_e32 v3, v75, v78
	v_fmac_f32_e32 v70, -0.5, v76
	v_add_f32_e32 v35, v14, v34
	v_fma_f32 v24, v87, v24, -v81
	v_fmac_f32_e32 v88, v87, v25
	v_fma_f32 v20, v20, v89, -v113
	v_fmac_f32_e32 v90, v21, v89
	v_mul_f32_e32 v21, v27, v96
	v_mul_f32_e32 v25, v26, v96
	;; [unrolled: 1-line block ×5, first 2 shown]
	v_fma_f32 v69, -0.5, v38, v69
	v_mul_f32_e32 v81, v17, v100
	v_mul_f32_e32 v83, v16, v100
	;; [unrolled: 1-line block ×3, first 2 shown]
	v_add_f32_e32 v38, v56, v15
	v_fma_f32 v87, v18, v91, -v114
	v_fmac_f32_e32 v92, v19, v91
	v_fma_f32 v30, v30, v93, -v116
	v_fmac_f32_e32 v94, v31, v93
	v_mul_f32_e32 v31, v13, v104
	v_mul_f32_e32 v89, v12, v104
	;; [unrolled: 1-line block ×4, first 2 shown]
	v_add_f32_e32 v33, v55, v14
	v_sub_f32_e32 v37, v15, v77
	v_add_f32_e32 v75, v15, v77
	v_fmamk_f32 v15, v79, 0xbf5db3d7, v70
	v_fmac_f32_e32 v70, 0x3f5db3d7, v79
	v_add_f32_e32 v79, v36, v32
	v_sub_f32_e32 v96, v82, v86
	v_add_f32_e32 v98, v58, v82
	v_add_f32_e32 v82, v82, v86
	v_fma_f32 v55, -0.5, v35, v55
	v_fma_f32 v21, v26, v95, -v21
	v_fmac_f32_e32 v25, v27, v95
	v_fma_f32 v26, v22, v97, -v78
	v_fmac_f32_e32 v80, v23, v97
	v_fmac_f32_e32 v85, v29, v101
	v_add_f32_e32 v29, v24, v20
	v_add_f32_e32 v35, v88, v90
	v_sub_f32_e32 v76, v14, v34
	v_fmamk_f32 v14, v39, 0x3f5db3d7, v69
	v_fma_f32 v22, v16, v99, -v81
	v_fmac_f32_e32 v83, v17, v99
	v_fma_f32 v27, v28, v101, -v84
	v_fmac_f32_e32 v69, 0xbf5db3d7, v39
	v_add_f32_e32 v19, v38, v77
	v_fma_f32 v23, v12, v103, -v31
	v_fmac_f32_e32 v89, v13, v103
	v_fma_f32 v31, v71, v105, -v91
	v_fmac_f32_e32 v93, v72, v105
	v_add_f32_e32 v38, v6, v87
	v_add_f32_e32 v77, v92, v94
	;; [unrolled: 1-line block ×3, first 2 shown]
	v_sub_f32_e32 v36, v36, v32
	v_add_f32_e32 v18, v33, v34
	v_add_f32_e32 v28, v8, v24
	;; [unrolled: 1-line block ×3, first 2 shown]
	v_fma_f32 v57, -0.5, v79, v57
	v_fmac_f32_e32 v58, -0.5, v82
	v_fma_f32 v8, -0.5, v29, v8
	v_fma_f32 v9, -0.5, v35, v9
	v_add_f32_e32 v29, v21, v26
	v_add_f32_e32 v35, v25, v80
	v_fmac_f32_e32 v56, -0.5, v75
	ds_write2_b64 v73, v[2:3], v[14:15] offset1:150
	ds_write_b64 v73, v[69:70] offset:2400
	v_add_f32_e32 v69, v22, v27
	v_add_f32_e32 v79, v83, v85
	v_sub_f32_e32 v33, v88, v90
	v_sub_f32_e32 v24, v24, v20
	v_add_f32_e32 v71, v87, v30
	v_add_f32_e32 v75, v7, v92
	;; [unrolled: 1-line block ×3, first 2 shown]
	v_fmac_f32_e32 v7, -0.5, v77
	v_add_f32_e32 v38, v23, v31
	v_add_f32_e32 v77, v89, v93
	;; [unrolled: 1-line block ×4, first 2 shown]
	v_fmamk_f32 v16, v37, 0x3f5db3d7, v55
	v_fmac_f32_e32 v55, 0xbf5db3d7, v37
	v_add_f32_e32 v2, v28, v20
	v_add_f32_e32 v3, v34, v90
	;; [unrolled: 1-line block ×3, first 2 shown]
	v_sub_f32_e32 v32, v25, v80
	v_add_f32_e32 v34, v11, v25
	v_sub_f32_e32 v37, v21, v26
	v_fmamk_f32 v20, v96, 0x3f5db3d7, v57
	v_fmamk_f32 v21, v36, 0xbf5db3d7, v58
	v_fma_f32 v10, -0.5, v29, v10
	v_fmac_f32_e32 v11, -0.5, v35
	v_fmac_f32_e32 v57, 0xbf5db3d7, v96
	v_fmac_f32_e32 v58, 0x3f5db3d7, v36
	v_fmamk_f32 v17, v76, 0xbf5db3d7, v56
	v_fmac_f32_e32 v56, 0x3f5db3d7, v76
	v_add_f32_e32 v39, v4, v22
	v_sub_f32_e32 v70, v83, v85
	v_add_f32_e32 v76, v5, v83
	v_sub_f32_e32 v81, v22, v27
	v_fma_f32 v4, -0.5, v69, v4
	v_fma_f32 v5, -0.5, v79, v5
	v_sub_f32_e32 v72, v92, v94
	v_sub_f32_e32 v78, v87, v30
	v_fma_f32 v6, -0.5, v71, v6
	v_add_f32_e32 v15, v75, v94
	v_add_f32_e32 v30, v0, v23
	v_sub_f32_e32 v71, v89, v93
	v_add_f32_e32 v75, v1, v89
	v_sub_f32_e32 v82, v23, v31
	v_fmamk_f32 v22, v33, 0x3f5db3d7, v8
	v_fmamk_f32 v23, v24, 0xbf5db3d7, v9
	v_fma_f32 v0, -0.5, v38, v0
	v_fmac_f32_e32 v1, -0.5, v77
	v_fmac_f32_e32 v8, 0xbf5db3d7, v33
	v_fmac_f32_e32 v9, 0x3f5db3d7, v24
	v_add_f32_e32 v24, v28, v26
	v_add_f32_e32 v25, v34, v80
	ds_write2_b64 v67, v[12:13], v[20:21] offset1:150
	ds_write_b64 v67, v[57:58] offset:2400
	ds_write2_b64 v43, v[18:19], v[16:17] offset0:96 offset1:246
	ds_write_b64 v73, v[55:56] offset:6240
	v_fmamk_f32 v12, v32, 0x3f5db3d7, v10
	v_fmamk_f32 v13, v37, 0xbf5db3d7, v11
	v_fmac_f32_e32 v10, 0xbf5db3d7, v32
	v_fmac_f32_e32 v11, 0x3f5db3d7, v37
	v_add_f32_e32 v26, v39, v27
	v_add_f32_e32 v27, v76, v85
	v_fmamk_f32 v16, v70, 0x3f5db3d7, v4
	v_fmamk_f32 v17, v81, 0xbf5db3d7, v5
	;; [unrolled: 1-line block ×3, first 2 shown]
	v_fmac_f32_e32 v6, 0xbf5db3d7, v72
	v_fmamk_f32 v29, v78, 0xbf5db3d7, v7
	v_fmac_f32_e32 v7, 0x3f5db3d7, v78
	v_add_f32_e32 v30, v30, v31
	v_add_f32_e32 v31, v75, v93
	v_fmac_f32_e32 v4, 0xbf5db3d7, v70
	v_fmac_f32_e32 v5, 0x3f5db3d7, v81
	v_fmamk_f32 v18, v71, 0x3f5db3d7, v0
	v_fmac_f32_e32 v0, 0xbf5db3d7, v71
	v_fmamk_f32 v19, v82, 0xbf5db3d7, v1
	v_fmac_f32_e32 v1, 0x3f5db3d7, v82
	ds_write2_b64 v53, v[2:3], v[22:23] offset1:150
	ds_write_b64 v53, v[8:9] offset:2400
	ds_write2_b64 v111, v[24:25], v[12:13] offset0:4 offset1:154
	ds_write_b64 v108, v[10:11] offset:9600
	ds_write2_b64 v112, v[26:27], v[16:17] offset0:70 offset1:220
	ds_write_b64 v110, v[4:5] offset:13200
	ds_write2_b64 v107, v[14:15], v[28:29] offset1:150
	ds_write_b64 v107, v[6:7] offset:2400
	ds_write2_b64 v115, v[30:31], v[18:19] offset0:8 offset1:158
	ds_write_b64 v109, v[0:1] offset:16800
	s_and_saveexec_b32 s2, s1
	s_cbranch_execz .LBB0_23
; %bb.22:
	v_lshrrev_b16 v0, 1, v40
	v_mul_u32_u24_sdwa v0, v0, v61 dst_sel:DWORD dst_unused:UNUSED_PAD src0_sel:WORD_0 src1_sel:DWORD
	v_lshrrev_b32_e32 v0, 22, v0
	v_mul_lo_u16 v0, 0x96, v0
	v_sub_nc_u16 v0, v40, v0
	v_and_b32_e32 v4, 0xffff, v0
	v_lshlrev_b32_e32 v0, 4, v4
	v_lshl_add_u32 v8, v4, 3, 0
	global_load_dwordx4 v[0:3], v0, s[12:13] offset:1120
	v_add_nc_u32_e32 v9, 0x3800, v8
	s_waitcnt vmcnt(0)
	v_mul_f32_e32 v5, v50, v1
	v_mul_f32_e32 v6, v49, v1
	;; [unrolled: 1-line block ×4, first 2 shown]
	v_fma_f32 v3, v49, v0, -v5
	v_fmac_f32_e32 v6, v50, v0
	v_fmac_f32_e32 v7, v48, v2
	v_fma_f32 v2, v47, v2, -v1
	v_add_f32_e32 v11, v51, v3
	v_add_f32_e32 v10, v52, v6
	;; [unrolled: 1-line block ×4, first 2 shown]
	v_sub_f32_e32 v4, v3, v2
	v_sub_f32_e32 v6, v6, v7
	v_add_f32_e32 v3, v10, v7
	v_fma_f32 v1, -0.5, v0, v52
	v_fma_f32 v0, -0.5, v5, v51
	v_add_f32_e32 v2, v11, v2
	v_fmamk_f32 v5, v4, 0x3f5db3d7, v1
	v_fmac_f32_e32 v1, 0xbf5db3d7, v4
	v_fmamk_f32 v4, v6, 0xbf5db3d7, v0
	v_fmac_f32_e32 v0, 0x3f5db3d7, v6
	ds_write2_b64 v9, v[2:3], v[0:1] offset0:8 offset1:158
	ds_write_b64 v8, v[4:5] offset:16800
.LBB0_23:
	s_or_b32 exec_lo, exec_lo, s2
	v_lshlrev_b32_e32 v53, 2, v60
	s_waitcnt lgkmcnt(0)
	s_barrier
	buffer_gl0_inv
	v_add_nc_u32_e32 v14, 0x800, v73
	v_lshlrev_b64 v[0:1], 3, v[53:54]
	v_lshlrev_b32_e32 v53, 2, v66
	v_add_nc_u32_e32 v13, 0x2000, v73
	v_add_nc_u32_e32 v12, 0x4000, v73
	s_add_u32 s2, s12, 0x4600
	s_addc_u32 s3, s13, 0
	v_add_co_u32 v4, s1, s12, v0
	v_add_co_ci_u32_e64 v5, s1, s13, v1, s1
	v_lshlrev_b64 v[0:1], 3, v[53:54]
	v_add_co_u32 v2, s1, 0x800, v4
	v_add_co_ci_u32_e64 v3, s1, 0, v5, s1
	v_add_co_u32 v4, s1, 0xdc0, v4
	v_add_co_ci_u32_e64 v5, s1, 0, v5, s1
	global_load_dwordx4 v[15:18], v[2:3], off offset:1472
	v_lshlrev_b32_e32 v53, 2, v68
	s_mov_b32 s6, exec_lo
	global_load_dwordx4 v[19:22], v[4:5], off offset:16
	v_add_co_u32 v2, s1, s12, v0
	v_add_co_ci_u32_e64 v3, s1, s13, v1, s1
	v_lshlrev_b64 v[4:5], 3, v[53:54]
	v_add_co_u32 v0, s1, 0x800, v2
	v_add_co_ci_u32_e64 v1, s1, 0, v3, s1
	v_add_co_u32 v2, s1, 0xdc0, v2
	v_add_co_ci_u32_e64 v3, s1, 0, v3, s1
	s_clause 0x1
	global_load_dwordx4 v[23:26], v[0:1], off offset:1472
	global_load_dwordx4 v[27:30], v[2:3], off offset:16
	v_add_co_u32 v2, s1, s12, v4
	v_add_co_ci_u32_e64 v3, s1, s13, v5, s1
	v_lshlrev_b32_e32 v53, 2, v46
	v_add_co_u32 v0, s1, 0x800, v2
	v_add_co_ci_u32_e64 v1, s1, 0, v3, s1
	v_add_co_u32 v2, s1, 0xdc0, v2
	v_add_co_ci_u32_e64 v3, s1, 0, v3, s1
	s_clause 0x1
	global_load_dwordx4 v[31:34], v[0:1], off offset:1472
	global_load_dwordx4 v[35:38], v[2:3], off offset:16
	v_lshlrev_b64 v[0:1], 3, v[53:54]
	v_lshlrev_b32_e32 v53, 2, v45
	v_add_co_u32 v2, s1, s12, v0
	v_add_co_ci_u32_e64 v3, s1, s13, v1, s1
	v_add_co_u32 v0, s1, 0x800, v2
	v_add_co_ci_u32_e64 v1, s1, 0, v3, s1
	;; [unrolled: 2-line block ×3, first 2 shown]
	s_clause 0x1
	global_load_dwordx4 v[47:50], v[0:1], off offset:1472
	global_load_dwordx4 v[55:58], v[2:3], off offset:16
	v_lshlrev_b64 v[0:1], 3, v[53:54]
	v_add_co_u32 v2, s1, s12, v0
	v_add_co_ci_u32_e64 v3, s1, s13, v1, s1
	v_add_co_u32 v0, s1, 0x800, v2
	v_add_co_ci_u32_e64 v1, s1, 0, v3, s1
	;; [unrolled: 2-line block ×3, first 2 shown]
	s_clause 0x1
	global_load_dwordx4 v[51:54], v[0:1], off offset:1472
	global_load_dwordx4 v[69:72], v[2:3], off offset:16
	v_add_nc_u32_e32 v0, 0xc00, v73
	v_add_nc_u32_e32 v1, 0x1800, v73
	;; [unrolled: 1-line block ×4, first 2 shown]
	ds_read_b64 v[8:9], v73
	ds_read2_b64 v[75:78], v0 offset0:66 offset1:156
	ds_read2_b64 v[79:82], v1 offset0:42 offset1:132
	;; [unrolled: 1-line block ×4, first 2 shown]
	ds_read_b64 v[6:7], v59
	ds_read_b64 v[4:5], v74
	v_add_nc_u32_e32 v0, 0x1c00, v73
	v_add_nc_u32_e32 v1, 0x3800, v73
	;; [unrolled: 1-line block ×4, first 2 shown]
	ds_read2_b64 v[91:94], v0 offset0:94 offset1:184
	ds_read2_b64 v[95:98], v1 offset0:98 offset1:188
	;; [unrolled: 1-line block ×7, first 2 shown]
	s_waitcnt vmcnt(0) lgkmcnt(0)
	s_barrier
	buffer_gl0_inv
	v_mul_f32_e32 v10, v16, v76
	v_mul_f32_e32 v11, v16, v75
	;; [unrolled: 1-line block ×8, first 2 shown]
	v_fma_f32 v10, v15, v75, -v10
	v_fmac_f32_e32 v11, v15, v76
	v_fma_f32 v15, v17, v81, -v16
	v_fmac_f32_e32 v18, v17, v82
	;; [unrolled: 2-line block ×4, first 2 shown]
	v_add_f32_e32 v61, v8, v10
	v_add_f32_e32 v67, v15, v16
	v_mul_f32_e32 v17, v78, v24
	v_mul_f32_e32 v19, v77, v24
	;; [unrolled: 1-line block ×8, first 2 shown]
	v_fma_f32 v17, v77, v23, -v17
	v_fmac_f32_e32 v19, v78, v23
	v_fma_f32 v21, v91, v25, -v21
	v_fmac_f32_e32 v24, v92, v25
	;; [unrolled: 2-line block ×4, first 2 shown]
	v_mul_f32_e32 v25, v100, v32
	v_mul_f32_e32 v26, v99, v32
	;; [unrolled: 1-line block ×7, first 2 shown]
	v_sub_f32_e32 v82, v15, v10
	v_sub_f32_e32 v83, v16, v39
	v_add_f32_e32 v84, v9, v11
	v_add_f32_e32 v85, v18, v20
	v_sub_f32_e32 v90, v11, v18
	v_sub_f32_e32 v91, v22, v20
	v_add_f32_e32 v92, v11, v22
	v_mul_f32_e32 v38, v97, v38
	v_sub_f32_e32 v75, v11, v22
	v_sub_f32_e32 v76, v18, v20
	;; [unrolled: 1-line block ×4, first 2 shown]
	v_add_f32_e32 v81, v10, v39
	v_sub_f32_e32 v86, v10, v39
	v_sub_f32_e32 v89, v15, v16
	;; [unrolled: 1-line block ×3, first 2 shown]
	v_fma_f32 v25, v99, v31, -v25
	v_fmac_f32_e32 v26, v100, v31
	v_fma_f32 v27, v93, v33, -v27
	v_fmac_f32_e32 v29, v94, v33
	;; [unrolled: 2-line block ×3, first 2 shown]
	v_fma_f32 v93, v97, v37, -v36
	v_mul_f32_e32 v32, v102, v48
	v_mul_f32_e32 v94, v101, v48
	;; [unrolled: 1-line block ×8, first 2 shown]
	v_add_f32_e32 v15, v61, v15
	v_fma_f32 v10, -0.5, v67, v8
	v_add_f32_e32 v48, v82, v83
	v_add_f32_e32 v18, v84, v18
	v_fma_f32 v11, -0.5, v85, v9
	v_add_f32_e32 v50, v90, v91
	v_fmac_f32_e32 v9, -0.5, v92
	v_add_f32_e32 v67, v6, v17
	v_sub_f32_e32 v82, v17, v21
	v_sub_f32_e32 v83, v43, v23
	v_add_f32_e32 v91, v7, v19
	v_add_f32_e32 v92, v24, v28
	;; [unrolled: 1-line block ×3, first 2 shown]
	v_sub_f32_e32 v96, v20, v22
	v_fmac_f32_e32 v38, v98, v37
	v_add_f32_e32 v37, v77, v78
	v_fma_f32 v8, -0.5, v81, v8
	v_add_f32_e32 v77, v21, v23
	v_sub_f32_e32 v81, v24, v28
	v_add_f32_e32 v84, v17, v43
	v_sub_f32_e32 v85, v21, v17
	v_sub_f32_e32 v90, v23, v43
	;; [unrolled: 1-line block ×6, first 2 shown]
	v_fma_f32 v32, v101, v47, -v32
	v_fmac_f32_e32 v94, v102, v47
	v_fma_f32 v101, v107, v49, -v33
	v_fmac_f32_e32 v97, v108, v49
	;; [unrolled: 2-line block ×4, first 2 shown]
	v_mul_f32_e32 v33, v80, v52
	v_mul_f32_e32 v105, v79, v52
	;; [unrolled: 1-line block ×7, first 2 shown]
	v_add_f32_e32 v49, v15, v16
	v_fmamk_f32 v15, v75, 0x3f737871, v10
	v_fmac_f32_e32 v10, 0xbf737871, v75
	v_add_f32_e32 v52, v18, v20
	v_add_f32_e32 v54, v67, v21
	;; [unrolled: 1-line block ×4, first 2 shown]
	v_fma_f32 v20, -0.5, v92, v7
	v_fmac_f32_e32 v7, -0.5, v100
	v_add_f32_e32 v82, v4, v25
	v_add_f32_e32 v83, v27, v31
	;; [unrolled: 1-line block ×5, first 2 shown]
	v_sub_f32_e32 v78, v19, v30
	v_sub_f32_e32 v96, v21, v23
	v_fmamk_f32 v16, v86, 0xbf737871, v11
	v_fmac_f32_e32 v11, 0x3f737871, v86
	v_fma_f32 v19, -0.5, v77, v6
	v_fma_f32 v6, -0.5, v84, v6
	v_add_f32_e32 v67, v85, v90
	v_add_f32_e32 v70, v98, v99
	v_add_f32_e32 v77, v103, v104
	v_sub_f32_e32 v84, v26, v38
	v_sub_f32_e32 v85, v29, v34
	;; [unrolled: 1-line block ×4, first 2 shown]
	v_add_f32_e32 v103, v29, v34
	v_sub_f32_e32 v108, v27, v31
	v_add_f32_e32 v115, v26, v38
	v_fma_f32 v79, v79, v51, -v33
	v_fmac_f32_e32 v105, v80, v51
	v_fma_f32 v80, v109, v53, -v35
	v_fma_f32 v87, v87, v69, -v36
	v_fmac_f32_e32 v107, v88, v69
	v_fma_f32 v88, v113, v71, -v47
	v_add_f32_e32 v21, v49, v39
	v_fmac_f32_e32 v15, 0x3f167918, v76
	v_fmac_f32_e32 v10, 0xbf167918, v76
	v_add_f32_e32 v33, v54, v23
	v_add_f32_e32 v35, v24, v28
	;; [unrolled: 1-line block ×3, first 2 shown]
	v_fma_f32 v27, -0.5, v83, v4
	v_fma_f32 v4, -0.5, v92, v4
	v_add_f32_e32 v47, v100, v29
	v_add_f32_e32 v49, v0, v32
	;; [unrolled: 1-line block ×3, first 2 shown]
	v_sub_f32_e32 v95, v17, v43
	v_mul_f32_e32 v72, v113, v72
	v_fmamk_f32 v17, v76, 0xbf737871, v8
	v_fmac_f32_e32 v8, 0x3f737871, v76
	v_fmamk_f32 v18, v89, 0x3f737871, v9
	v_fmac_f32_e32 v9, 0xbf737871, v89
	v_sub_f32_e32 v91, v93, v31
	v_sub_f32_e32 v99, v31, v93
	;; [unrolled: 1-line block ×5, first 2 shown]
	v_fmac_f32_e32 v16, 0xbf167918, v89
	v_fmac_f32_e32 v11, 0x3f167918, v89
	v_fma_f32 v28, -0.5, v103, v5
	v_fmac_f32_e32 v5, -0.5, v115
	v_sub_f32_e32 v69, v94, v58
	v_add_f32_e32 v82, v32, v55
	v_add_f32_e32 v89, v1, v94
	v_fmac_f32_e32 v15, 0x3e9e377a, v37
	v_fmac_f32_e32 v10, 0x3e9e377a, v37
	v_add_f32_e32 v29, v33, v43
	v_add_f32_e32 v30, v35, v30
	;; [unrolled: 1-line block ×3, first 2 shown]
	v_fmamk_f32 v31, v84, 0x3f737871, v27
	v_fmac_f32_e32 v27, 0xbf737871, v84
	v_fmamk_f32 v33, v85, 0xbf737871, v4
	v_fmac_f32_e32 v4, 0x3f737871, v85
	v_add_f32_e32 v43, v47, v34
	v_add_f32_e32 v47, v49, v101
	v_fma_f32 v35, -0.5, v54, v0
	v_sub_f32_e32 v112, v38, v34
	v_sub_f32_e32 v117, v34, v38
	v_fmac_f32_e32 v72, v114, v71
	v_fmac_f32_e32 v17, 0x3f167918, v75
	;; [unrolled: 1-line block ×3, first 2 shown]
	v_add_f32_e32 v39, v90, v91
	v_add_f32_e32 v51, v98, v99
	v_sub_f32_e32 v71, v97, v56
	v_sub_f32_e32 v75, v32, v101
	v_sub_f32_e32 v76, v55, v102
	v_sub_f32_e32 v83, v101, v32
	v_add_f32_e32 v90, v97, v56
	v_sub_f32_e32 v91, v32, v55
	v_fmamk_f32 v32, v104, 0xbf737871, v28
	v_fmac_f32_e32 v28, 0x3f737871, v104
	v_fmamk_f32 v34, v108, 0x3f737871, v5
	v_fmac_f32_e32 v5, 0xbf737871, v108
	v_fma_f32 v0, -0.5, v82, v0
	v_add_f32_e32 v54, v89, v97
	v_fmac_f32_e32 v31, 0x3f167918, v85
	v_fmac_f32_e32 v27, 0xbf167918, v85
	;; [unrolled: 1-line block ×4, first 2 shown]
	v_add_f32_e32 v38, v43, v38
	v_add_f32_e32 v43, v47, v102
	v_fmamk_f32 v47, v69, 0x3f737871, v35
	v_fmac_f32_e32 v35, 0xbf737871, v69
	v_fmac_f32_e32 v106, v110, v53
	v_add_f32_e32 v22, v52, v22
	v_fmac_f32_e32 v18, 0xbf167918, v86
	v_fmac_f32_e32 v9, 0x3f167918, v86
	v_add_f32_e32 v52, v111, v112
	v_add_f32_e32 v53, v116, v117
	v_sub_f32_e32 v86, v102, v55
	v_fmac_f32_e32 v17, 0x3e9e377a, v48
	v_fmac_f32_e32 v8, 0x3e9e377a, v48
	v_add_f32_e32 v48, v75, v76
	v_fma_f32 v36, -0.5, v90, v1
	v_fmac_f32_e32 v32, 0xbf167918, v108
	v_fmac_f32_e32 v28, 0x3f167918, v108
	;; [unrolled: 1-line block ×4, first 2 shown]
	v_fmamk_f32 v49, v71, 0xbf737871, v0
	v_fmac_f32_e32 v0, 0x3f737871, v71
	v_fmac_f32_e32 v31, 0x3e9e377a, v39
	;; [unrolled: 1-line block ×7, first 2 shown]
	v_add_f32_e32 v51, v43, v55
	v_add_f32_e32 v39, v54, v56
	;; [unrolled: 1-line block ×3, first 2 shown]
	v_sub_f32_e32 v54, v94, v97
	v_sub_f32_e32 v55, v58, v56
	v_fmamk_f32 v23, v78, 0x3f737871, v19
	v_fmac_f32_e32 v19, 0xbf737871, v78
	v_fmac_f32_e32 v16, 0x3e9e377a, v50
	;; [unrolled: 1-line block ×3, first 2 shown]
	v_add_f32_e32 v50, v83, v86
	v_fmac_f32_e32 v32, 0x3e9e377a, v52
	v_fmac_f32_e32 v28, 0x3e9e377a, v52
	;; [unrolled: 1-line block ×8, first 2 shown]
	v_fmamk_f32 v48, v91, 0xbf737871, v36
	v_sub_f32_e32 v53, v101, v102
	v_fma_f32 v1, -0.5, v43, v1
	v_add_f32_e32 v52, v39, v58
	v_add_f32_e32 v39, v54, v55
	v_fmac_f32_e32 v36, 0x3f737871, v91
	v_sub_f32_e32 v43, v97, v94
	v_sub_f32_e32 v54, v56, v58
	v_add_f32_e32 v55, v80, v87
	v_fmac_f32_e32 v23, 0x3f167918, v81
	v_fmac_f32_e32 v19, 0xbf167918, v81
	;; [unrolled: 1-line block ×5, first 2 shown]
	v_fmamk_f32 v50, v53, 0x3f737871, v1
	v_fmac_f32_e32 v36, 0x3f167918, v53
	v_add_f32_e32 v43, v43, v54
	v_fmac_f32_e32 v1, 0xbf737871, v53
	v_add_f32_e32 v54, v2, v79
	v_fma_f32 v53, -0.5, v55, v2
	v_sub_f32_e32 v56, v105, v72
	v_fmac_f32_e32 v23, 0x3e9e377a, v57
	v_fmac_f32_e32 v19, 0x3e9e377a, v57
	;; [unrolled: 1-line block ×4, first 2 shown]
	v_add_f32_e32 v39, v54, v80
	v_fmamk_f32 v55, v56, 0x3f737871, v53
	v_sub_f32_e32 v54, v106, v107
	v_sub_f32_e32 v57, v79, v80
	;; [unrolled: 1-line block ×3, first 2 shown]
	v_fmac_f32_e32 v53, 0xbf737871, v56
	v_fmac_f32_e32 v18, 0x3e9e377a, v61
	v_fmac_f32_e32 v9, 0x3e9e377a, v61
	v_add_f32_e32 v61, v79, v88
	v_fmac_f32_e32 v50, 0xbf167918, v91
	v_fmac_f32_e32 v1, 0x3f167918, v91
	;; [unrolled: 1-line block ×3, first 2 shown]
	v_add_f32_e32 v58, v57, v58
	v_fmac_f32_e32 v53, 0xbf167918, v54
	v_add_f32_e32 v39, v39, v87
	v_fma_f32 v2, -0.5, v61, v2
	v_fmamk_f32 v25, v81, 0xbf737871, v6
	v_fmac_f32_e32 v6, 0x3f737871, v81
	v_fmac_f32_e32 v50, 0x3e9e377a, v43
	;; [unrolled: 1-line block ×5, first 2 shown]
	v_sub_f32_e32 v43, v80, v79
	v_sub_f32_e32 v58, v87, v88
	v_add_f32_e32 v61, v3, v105
	v_add_f32_e32 v57, v39, v88
	v_fmamk_f32 v69, v54, 0xbf737871, v2
	v_add_f32_e32 v39, v106, v107
	v_fmac_f32_e32 v2, 0x3f737871, v54
	v_fmamk_f32 v24, v95, 0xbf737871, v20
	v_fmac_f32_e32 v20, 0x3f737871, v95
	v_fmac_f32_e32 v25, 0x3f167918, v78
	;; [unrolled: 1-line block ×3, first 2 shown]
	v_add_f32_e32 v43, v43, v58
	v_add_f32_e32 v58, v61, v106
	;; [unrolled: 1-line block ×3, first 2 shown]
	v_fma_f32 v54, -0.5, v39, v3
	v_sub_f32_e32 v39, v79, v88
	v_fmac_f32_e32 v69, 0x3f167918, v56
	v_fmac_f32_e32 v2, 0xbf167918, v56
	;; [unrolled: 1-line block ×6, first 2 shown]
	v_sub_f32_e32 v67, v80, v87
	v_fmac_f32_e32 v3, -0.5, v61
	v_fmamk_f32 v26, v96, 0x3f737871, v7
	v_fmac_f32_e32 v7, 0xbf737871, v96
	v_fmamk_f32 v56, v39, 0xbf737871, v54
	v_fmac_f32_e32 v69, 0x3e9e377a, v43
	v_fmac_f32_e32 v2, 0x3e9e377a, v43
	v_add_f32_e32 v43, v58, v107
	v_sub_f32_e32 v58, v105, v106
	v_sub_f32_e32 v61, v72, v107
	v_fmac_f32_e32 v24, 0x3e9e377a, v70
	v_fmac_f32_e32 v20, 0x3e9e377a, v70
	v_fmac_f32_e32 v54, 0x3f737871, v39
	v_fmamk_f32 v70, v67, 0x3f737871, v3
	v_sub_f32_e32 v71, v106, v105
	v_sub_f32_e32 v75, v107, v72
	v_fmac_f32_e32 v3, 0xbf737871, v67
	v_fmac_f32_e32 v26, 0xbf167918, v95
	;; [unrolled: 1-line block ×4, first 2 shown]
	v_add_f32_e32 v61, v58, v61
	v_fmac_f32_e32 v54, 0x3f167918, v67
	v_fmac_f32_e32 v70, 0xbf167918, v39
	v_add_f32_e32 v67, v71, v75
	v_fmac_f32_e32 v3, 0x3f167918, v39
	v_add_f32_e32 v58, v43, v72
	v_fmac_f32_e32 v26, 0x3e9e377a, v77
	v_fmac_f32_e32 v7, 0x3e9e377a, v77
	v_add_f32_e32 v37, v37, v93
	v_fmac_f32_e32 v56, 0x3e9e377a, v61
	ds_write_b64 v73, v[21:22]
	ds_write_b64 v73, v[15:16] offset:3600
	ds_write_b64 v73, v[17:18] offset:7200
	;; [unrolled: 1-line block ×4, first 2 shown]
	ds_write_b64 v59, v[29:30]
	ds_write_b64 v59, v[23:24] offset:3600
	ds_write_b64 v59, v[25:26] offset:7200
	;; [unrolled: 1-line block ×4, first 2 shown]
	ds_write_b64 v74, v[37:38]
	ds_write_b64 v74, v[31:32] offset:3600
	ds_write_b64 v74, v[33:34] offset:7200
	v_add_nc_u32_e32 v6, 0x1400, v73
	v_fmac_f32_e32 v70, 0x3e9e377a, v67
	v_fmac_f32_e32 v3, 0x3e9e377a, v67
	ds_write_b64 v74, v[4:5] offset:10800
	v_add_nc_u32_e32 v4, 0x3000, v73
	v_fmac_f32_e32 v54, 0x3e9e377a, v61
	ds_write_b64 v74, v[27:28] offset:14400
	ds_write2_b64 v14, v[51:52], v[57:58] offset0:14 offset1:104
	ds_write2_b64 v6, v[47:48], v[55:56] offset0:80 offset1:170
	;; [unrolled: 1-line block ×5, first 2 shown]
	s_waitcnt lgkmcnt(0)
	s_barrier
	buffer_gl0_inv
	ds_read_b64 v[2:3], v73
	v_lshlrev_b32_e32 v0, 3, v60
                                        ; implicit-def: $vgpr1
                                        ; implicit-def: $vgpr5
	v_sub_nc_u32_e32 v4, 0, v0
	v_cmpx_ne_u32_e32 0, v60
	s_xor_b32 s6, exec_lo, s6
	s_cbranch_execz .LBB0_25
; %bb.24:
	v_mov_b32_e32 v61, 0
	v_lshlrev_b64 v[0:1], 3, v[60:61]
	v_add_co_u32 v0, s1, s2, v0
	v_add_co_ci_u32_e64 v1, s1, s3, v1, s1
	global_load_dwordx2 v[6:7], v[0:1], off
	ds_read_b64 v[0:1], v4 offset:18000
	s_waitcnt lgkmcnt(0)
	v_sub_f32_e32 v5, v2, v0
	v_add_f32_e32 v8, v1, v3
	v_sub_f32_e32 v1, v3, v1
	v_add_f32_e32 v0, v0, v2
	v_mul_f32_e32 v3, 0.5, v5
	v_mul_f32_e32 v2, 0.5, v8
	;; [unrolled: 1-line block ×3, first 2 shown]
	s_waitcnt vmcnt(0)
	v_mul_f32_e32 v5, v7, v3
	v_fma_f32 v8, v2, v7, v1
	v_fma_f32 v1, v2, v7, -v1
	v_fma_f32 v9, 0.5, v0, v5
	v_fma_f32 v0, v0, 0.5, -v5
	v_fma_f32 v5, -v6, v3, v8
	v_fma_f32 v1, -v6, v3, v1
	v_fmac_f32_e32 v9, v6, v2
	v_fma_f32 v0, -v6, v2, v0
                                        ; implicit-def: $vgpr2_vgpr3
	ds_write_b32 v73, v9
.LBB0_25:
	s_andn2_saveexec_b32 s1, s6
	s_cbranch_execz .LBB0_27
; %bb.26:
	v_mov_b32_e32 v5, 0
	s_waitcnt lgkmcnt(0)
	v_add_f32_e32 v6, v2, v3
	v_sub_f32_e32 v0, v2, v3
	ds_read_b32 v1, v5 offset:9004
	s_waitcnt lgkmcnt(0)
	v_xor_b32_e32 v2, 0x80000000, v1
	v_mov_b32_e32 v1, v5
	ds_write_b32 v73, v6
	ds_write_b32 v5, v2 offset:9004
.LBB0_27:
	s_or_b32 exec_lo, exec_lo, s1
	v_mov_b32_e32 v67, 0
	s_waitcnt lgkmcnt(0)
	v_lshlrev_b64 v[2:3], 3, v[66:67]
	v_mov_b32_e32 v69, v67
	v_mov_b32_e32 v47, v67
	;; [unrolled: 1-line block ×3, first 2 shown]
	v_add_nc_u32_e32 v66, 0x32a, v60
	v_lshlrev_b64 v[6:7], 3, v[68:69]
	v_add_co_u32 v2, s1, s2, v2
	v_add_co_ci_u32_e64 v3, s1, s3, v3, s1
	v_lshlrev_b64 v[8:9], 3, v[46:47]
	v_add_co_u32 v6, s1, s2, v6
	global_load_dwordx2 v[2:3], v[2:3], off
	v_add_co_ci_u32_e64 v7, s1, s3, v7, s1
	v_add_co_u32 v8, s1, s2, v8
	v_add_co_ci_u32_e64 v9, s1, s3, v9, s1
	global_load_dwordx2 v[6:7], v[6:7], off
	v_mov_b32_e32 v46, v67
	v_lshlrev_b64 v[12:13], 3, v[42:43]
	global_load_dwordx2 v[8:9], v[8:9], off
	v_mov_b32_e32 v42, v67
	v_lshlrev_b64 v[10:11], 3, v[45:46]
	v_mov_b32_e32 v45, v67
	v_lshlrev_b64 v[14:15], 3, v[41:42]
	v_mov_b32_e32 v41, v67
	v_add_co_u32 v10, s1, s2, v10
	v_add_co_ci_u32_e64 v11, s1, s3, v11, s1
	v_add_co_u32 v12, s1, s2, v12
	v_add_co_ci_u32_e64 v13, s1, s3, v13, s1
	global_load_dwordx2 v[10:11], v[10:11], off
	v_add_co_u32 v14, s1, s2, v14
	global_load_dwordx2 v[12:13], v[12:13], off
	v_add_co_ci_u32_e64 v15, s1, s3, v15, s1
	v_lshlrev_b64 v[16:17], 3, v[44:45]
	global_load_dwordx2 v[14:15], v[14:15], off
	ds_write_b32 v73, v5 offset:4
	ds_write_b64 v4, v[0:1] offset:18000
	v_add_co_u32 v0, s1, s2, v16
	v_add_co_ci_u32_e64 v1, s1, s3, v17, s1
	ds_read_b64 v[16:17], v59
	ds_read_b64 v[18:19], v4 offset:17280
	global_load_dwordx2 v[0:1], v[0:1], off
	s_waitcnt lgkmcnt(0)
	v_sub_f32_e32 v5, v16, v18
	v_add_f32_e32 v20, v17, v19
	v_sub_f32_e32 v17, v17, v19
	v_add_f32_e32 v18, v16, v18
	v_mul_f32_e32 v5, 0.5, v5
	v_mul_f32_e32 v20, 0.5, v20
	;; [unrolled: 1-line block ×3, first 2 shown]
	s_waitcnt vmcnt(6)
	v_mul_f32_e32 v19, v3, v5
	v_fma_f32 v21, v20, v3, v17
	v_fma_f32 v3, v20, v3, -v17
	v_fma_f32 v16, 0.5, v18, v19
	v_fma_f32 v22, v18, 0.5, -v19
	v_lshlrev_b64 v[18:19], 3, v[40:41]
	v_fma_f32 v17, -v2, v5, v21
	v_fma_f32 v3, -v2, v5, v3
	v_fmac_f32_e32 v16, v2, v20
	v_fma_f32 v2, -v2, v20, v22
	ds_write_b64 v59, v[16:17]
	ds_write_b64 v4, v[2:3] offset:17280
	v_add_co_u32 v18, s1, s2, v18
	v_add_co_ci_u32_e64 v19, s1, s3, v19, s1
	ds_read_b64 v[2:3], v74
	ds_read_b64 v[16:17], v4 offset:16560
	global_load_dwordx2 v[18:19], v[18:19], off
	s_waitcnt lgkmcnt(0)
	v_sub_f32_e32 v5, v2, v16
	v_add_f32_e32 v20, v3, v17
	v_sub_f32_e32 v3, v3, v17
	v_add_f32_e32 v16, v2, v16
	v_mul_f32_e32 v5, 0.5, v5
	v_mul_f32_e32 v20, 0.5, v20
	;; [unrolled: 1-line block ×3, first 2 shown]
	s_waitcnt vmcnt(6)
	v_mul_f32_e32 v17, v7, v5
	v_fma_f32 v21, v20, v7, v3
	v_fma_f32 v7, v20, v7, -v3
	v_fma_f32 v2, 0.5, v16, v17
	v_fma_f32 v22, v16, 0.5, -v17
	v_lshlrev_b64 v[16:17], 3, v[66:67]
	v_fma_f32 v3, -v6, v5, v21
	v_fma_f32 v7, -v6, v5, v7
	v_fmac_f32_e32 v2, v6, v20
	v_fma_f32 v6, -v6, v20, v22
	ds_write_b64 v74, v[2:3]
	ds_write_b64 v4, v[6:7] offset:16560
	v_add_co_u32 v16, s1, s2, v16
	v_add_co_ci_u32_e64 v17, s1, s3, v17, s1
	ds_read_b64 v[2:3], v73 offset:2160
	ds_read_b64 v[5:6], v4 offset:15840
	v_add_nc_u32_e32 v66, 0x384, v60
	global_load_dwordx2 v[16:17], v[16:17], off
	s_waitcnt lgkmcnt(0)
	v_sub_f32_e32 v7, v2, v5
	v_add_f32_e32 v20, v3, v6
	v_sub_f32_e32 v3, v3, v6
	v_add_f32_e32 v5, v2, v5
	v_mul_f32_e32 v7, 0.5, v7
	v_mul_f32_e32 v20, 0.5, v20
	;; [unrolled: 1-line block ×3, first 2 shown]
	s_waitcnt vmcnt(6)
	v_mul_f32_e32 v6, v9, v7
	v_fma_f32 v21, v20, v9, v3
	v_fma_f32 v9, v20, v9, -v3
	v_fma_f32 v2, 0.5, v5, v6
	v_fma_f32 v22, v5, 0.5, -v6
	v_lshlrev_b64 v[5:6], 3, v[66:67]
	v_fma_f32 v3, -v8, v7, v21
	v_fma_f32 v9, -v8, v7, v9
	v_fmac_f32_e32 v2, v8, v20
	v_fma_f32 v8, -v8, v20, v22
	ds_write_b64 v73, v[2:3] offset:2160
	ds_write_b64 v4, v[8:9] offset:15840
	v_add_co_u32 v5, s1, s2, v5
	v_add_co_ci_u32_e64 v6, s1, s3, v6, s1
	ds_read_b64 v[2:3], v73 offset:2880
	ds_read_b64 v[7:8], v4 offset:15120
	v_add_nc_u32_e32 v66, 0x3de, v60
	global_load_dwordx2 v[5:6], v[5:6], off
	s_waitcnt lgkmcnt(0)
	v_add_f32_e32 v20, v3, v8
	v_sub_f32_e32 v3, v3, v8
	v_sub_f32_e32 v9, v2, v7
	v_add_f32_e32 v21, v2, v7
	v_mul_f32_e32 v20, 0.5, v20
	v_mul_f32_e32 v8, 0.5, v3
	v_lshlrev_b64 v[2:3], 3, v[66:67]
	v_mul_f32_e32 v9, 0.5, v9
	s_waitcnt vmcnt(6)
	v_fma_f32 v23, v20, v11, v8
	v_add_co_u32 v2, s1, s2, v2
	v_add_co_ci_u32_e64 v3, s1, s3, v3, s1
	v_mul_f32_e32 v22, v11, v9
	v_fma_f32 v11, v20, v11, -v8
	v_fma_f32 v8, -v10, v9, v23
	global_load_dwordx2 v[2:3], v[2:3], off
	v_fma_f32 v7, 0.5, v21, v22
	v_fma_f32 v21, v21, 0.5, -v22
	v_fma_f32 v11, -v10, v9, v11
	v_fmac_f32_e32 v7, v10, v20
	v_fma_f32 v10, -v10, v20, v21
	ds_write_b64 v73, v[7:8] offset:2880
	ds_write_b64 v4, v[10:11] offset:15120
	ds_read_b64 v[7:8], v73 offset:3600
	ds_read_b64 v[9:10], v4 offset:14400
	s_waitcnt lgkmcnt(0)
	v_sub_f32_e32 v11, v7, v9
	v_add_f32_e32 v20, v8, v10
	v_sub_f32_e32 v8, v8, v10
	v_add_f32_e32 v9, v7, v9
	v_mul_f32_e32 v10, 0.5, v11
	v_mul_f32_e32 v11, 0.5, v20
	v_mul_f32_e32 v8, 0.5, v8
	s_waitcnt vmcnt(6)
	v_mul_f32_e32 v20, v13, v10
	v_fma_f32 v21, v11, v13, v8
	v_fma_f32 v13, v11, v13, -v8
	v_fma_f32 v7, 0.5, v9, v20
	v_fma_f32 v9, v9, 0.5, -v20
	v_fma_f32 v8, -v12, v10, v21
	v_fma_f32 v10, -v12, v10, v13
	v_fmac_f32_e32 v7, v12, v11
	v_fma_f32 v9, -v12, v11, v9
	ds_write_b64 v73, v[7:8] offset:3600
	ds_write_b64 v4, v[9:10] offset:14400
	ds_read_b64 v[7:8], v73 offset:4320
	ds_read_b64 v[9:10], v4 offset:13680
	s_waitcnt lgkmcnt(0)
	v_sub_f32_e32 v11, v7, v9
	v_add_f32_e32 v12, v8, v10
	v_sub_f32_e32 v8, v8, v10
	v_add_f32_e32 v9, v7, v9
	v_mul_f32_e32 v10, 0.5, v11
	v_mul_f32_e32 v11, 0.5, v12
	v_mul_f32_e32 v8, 0.5, v8
	s_waitcnt vmcnt(5)
	v_mul_f32_e32 v12, v15, v10
	v_fma_f32 v13, v11, v15, v8
	v_fma_f32 v15, v11, v15, -v8
	v_fma_f32 v7, 0.5, v9, v12
	v_fma_f32 v9, v9, 0.5, -v12
	v_fma_f32 v8, -v14, v10, v13
	;; [unrolled: 22-line block ×7, first 2 shown]
	v_fma_f32 v3, -v2, v6, v3
	v_fmac_f32_e32 v0, v2, v7
	v_fma_f32 v2, -v2, v7, v5
	ds_write_b64 v73, v[0:1] offset:7920
	ds_write_b64 v4, v[2:3] offset:10080
	s_and_saveexec_b32 s1, s0
	s_cbranch_execz .LBB0_29
; %bb.28:
	v_add_nc_u32_e32 v66, 0x438, v60
	v_lshlrev_b64 v[0:1], 3, v[66:67]
	v_add_co_u32 v0, s0, s2, v0
	v_add_co_ci_u32_e64 v1, s0, s3, v1, s0
	global_load_dwordx2 v[0:1], v[0:1], off
	ds_read_b64 v[2:3], v73 offset:8640
	ds_read_b64 v[5:6], v4 offset:9360
	s_waitcnt lgkmcnt(0)
	v_sub_f32_e32 v7, v2, v5
	v_add_f32_e32 v8, v3, v6
	v_sub_f32_e32 v3, v3, v6
	v_add_f32_e32 v2, v2, v5
	v_mul_f32_e32 v6, 0.5, v7
	v_mul_f32_e32 v7, 0.5, v8
	;; [unrolled: 1-line block ×3, first 2 shown]
	s_waitcnt vmcnt(0)
	v_mul_f32_e32 v5, v1, v6
	v_fma_f32 v8, v7, v1, v3
	v_fma_f32 v3, v7, v1, -v3
	v_fma_f32 v1, 0.5, v2, v5
	v_fma_f32 v5, v2, 0.5, -v5
	v_fma_f32 v2, -v0, v6, v8
	v_fma_f32 v6, -v0, v6, v3
	v_fmac_f32_e32 v1, v0, v7
	v_fma_f32 v5, -v0, v7, v5
	ds_write_b64 v73, v[1:2] offset:8640
	ds_write_b64 v4, v[5:6] offset:9360
.LBB0_29:
	s_or_b32 exec_lo, exec_lo, s1
	s_waitcnt lgkmcnt(0)
	s_barrier
	buffer_gl0_inv
	s_and_saveexec_b32 s0, vcc_lo
	s_cbranch_execz .LBB0_32
; %bb.30:
	v_mul_lo_u32 v2, s5, v64
	v_mul_lo_u32 v3, s4, v65
	v_mad_u64_u32 v[0:1], null, s4, v64, 0
	v_lshl_add_u32 v22, v60, 3, 0
	v_mov_b32_e32 v61, 0
	v_lshlrev_b64 v[6:7], 3, v[62:63]
	v_add_nc_u32_e32 v8, 0x5a, v60
	v_add_nc_u32_e32 v10, 0xb4, v60
	;; [unrolled: 1-line block ×3, first 2 shown]
	v_add3_u32 v1, v1, v3, v2
	ds_read2_b64 v[2:5], v22 offset1:90
	v_lshlrev_b64 v[13:14], 3, v[60:61]
	v_mov_b32_e32 v9, v61
	v_mov_b32_e32 v11, v61
	v_lshlrev_b64 v[0:1], 3, v[0:1]
	v_add_nc_u32_e32 v19, 0x800, v22
	v_add_nc_u32_e32 v18, 0x168, v60
	v_lshlrev_b64 v[8:9], 3, v[8:9]
	v_add_nc_u32_e32 v20, 0x1c2, v60
	v_mov_b32_e32 v21, v61
	v_add_co_u32 v0, vcc_lo, s10, v0
	v_add_co_ci_u32_e32 v1, vcc_lo, s11, v1, vcc_lo
	v_add_co_u32 v0, vcc_lo, v0, v6
	v_add_co_ci_u32_e32 v1, vcc_lo, v1, v7, vcc_lo
	;; [unrolled: 2-line block ×3, first 2 shown]
	v_add_nc_u32_e32 v14, 0x400, v22
	v_mov_b32_e32 v13, v61
	s_waitcnt lgkmcnt(0)
	global_store_dwordx2 v[6:7], v[2:3], off
	v_add_co_u32 v2, vcc_lo, v0, v8
	v_add_co_ci_u32_e32 v3, vcc_lo, v1, v9, vcc_lo
	ds_read2_b64 v[6:9], v14 offset0:52 offset1:142
	v_lshlrev_b64 v[14:15], 3, v[10:11]
	v_lshlrev_b64 v[16:17], 3, v[12:13]
	ds_read2_b64 v[10:13], v19 offset0:104 offset1:194
	v_mov_b32_e32 v19, v61
	v_add_co_u32 v14, vcc_lo, v0, v14
	v_lshlrev_b64 v[18:19], 3, v[18:19]
	v_add_co_ci_u32_e32 v15, vcc_lo, v1, v15, vcc_lo
	v_add_co_u32 v16, vcc_lo, v0, v16
	v_add_co_ci_u32_e32 v17, vcc_lo, v1, v17, vcc_lo
	v_add_co_u32 v18, vcc_lo, v0, v18
	v_add_co_ci_u32_e32 v19, vcc_lo, v1, v19, vcc_lo
	global_store_dwordx2 v[2:3], v[4:5], off
	s_waitcnt lgkmcnt(1)
	global_store_dwordx2 v[14:15], v[6:7], off
	global_store_dwordx2 v[16:17], v[8:9], off
	s_waitcnt lgkmcnt(0)
	global_store_dwordx2 v[18:19], v[10:11], off
	v_lshlrev_b64 v[2:3], 3, v[20:21]
	v_add_nc_u32_e32 v4, 0x1000, v22
	v_add_nc_u32_e32 v6, 0x21c, v60
	v_mov_b32_e32 v7, v61
	v_add_nc_u32_e32 v8, 0x276, v60
	v_mov_b32_e32 v9, v61
	v_add_nc_u32_e32 v19, 0x1400, v22
	v_add_co_u32 v10, vcc_lo, v0, v2
	v_add_co_ci_u32_e32 v11, vcc_lo, v1, v3, vcc_lo
	ds_read2_b64 v[2:5], v4 offset0:28 offset1:118
	v_lshlrev_b64 v[14:15], 3, v[6:7]
	v_lshlrev_b64 v[16:17], 3, v[8:9]
	ds_read2_b64 v[6:9], v19 offset0:80 offset1:170
	v_add_nc_u32_e32 v18, 0x2d0, v60
	v_mov_b32_e32 v19, v61
	v_add_nc_u32_e32 v20, 0x32a, v60
	v_add_co_u32 v14, vcc_lo, v0, v14
	v_add_co_ci_u32_e32 v15, vcc_lo, v1, v15, vcc_lo
	v_lshlrev_b64 v[18:19], 3, v[18:19]
	v_add_co_u32 v16, vcc_lo, v0, v16
	v_add_co_ci_u32_e32 v17, vcc_lo, v1, v17, vcc_lo
	v_add_co_u32 v18, vcc_lo, v0, v18
	v_add_co_ci_u32_e32 v19, vcc_lo, v1, v19, vcc_lo
	global_store_dwordx2 v[10:11], v[12:13], off
	s_waitcnt lgkmcnt(1)
	global_store_dwordx2 v[14:15], v[2:3], off
	global_store_dwordx2 v[16:17], v[4:5], off
	s_waitcnt lgkmcnt(0)
	global_store_dwordx2 v[18:19], v[6:7], off
	v_lshlrev_b64 v[2:3], 3, v[20:21]
	v_add_nc_u32_e32 v4, 0x1800, v22
	v_add_nc_u32_e32 v10, 0x3de, v60
	v_mov_b32_e32 v11, v61
	v_add_nc_u32_e32 v12, 0x2000, v22
	v_add_nc_u32_e32 v6, 0x384, v60
	v_mov_b32_e32 v7, v61
	v_add_co_u32 v14, vcc_lo, v0, v2
	v_add_co_ci_u32_e32 v15, vcc_lo, v1, v3, vcc_lo
	ds_read2_b64 v[2:5], v4 offset0:132 offset1:222
	v_lshlrev_b64 v[16:17], 3, v[10:11]
	ds_read2_b64 v[10:13], v12 offset0:56 offset1:146
	v_lshlrev_b64 v[6:7], 3, v[6:7]
	v_add_nc_u32_e32 v18, 0x438, v60
	v_mov_b32_e32 v19, v61
	v_add_nc_u32_e32 v20, 0x492, v60
	v_add_co_u32 v6, vcc_lo, v0, v6
	v_lshlrev_b64 v[18:19], 3, v[18:19]
	v_add_co_ci_u32_e32 v7, vcc_lo, v1, v7, vcc_lo
	v_add_co_u32 v16, vcc_lo, v0, v16
	v_add_co_ci_u32_e32 v17, vcc_lo, v1, v17, vcc_lo
	v_add_co_u32 v18, vcc_lo, v0, v18
	v_add_co_ci_u32_e32 v19, vcc_lo, v1, v19, vcc_lo
	global_store_dwordx2 v[14:15], v[8:9], off
	s_waitcnt lgkmcnt(1)
	global_store_dwordx2 v[6:7], v[2:3], off
	global_store_dwordx2 v[16:17], v[4:5], off
	s_waitcnt lgkmcnt(0)
	global_store_dwordx2 v[18:19], v[10:11], off
	v_lshlrev_b64 v[2:3], 3, v[20:21]
	v_add_nc_u32_e32 v4, 0x2400, v22
	v_add_nc_u32_e32 v6, 0x4ec, v60
	v_mov_b32_e32 v7, v61
	v_add_nc_u32_e32 v8, 0x546, v60
	v_mov_b32_e32 v9, v61
	v_add_nc_u32_e32 v19, 0x2800, v22
	v_add_co_u32 v10, vcc_lo, v0, v2
	v_add_co_ci_u32_e32 v11, vcc_lo, v1, v3, vcc_lo
	ds_read2_b64 v[2:5], v4 offset0:108 offset1:198
	v_lshlrev_b64 v[14:15], 3, v[6:7]
	v_lshlrev_b64 v[16:17], 3, v[8:9]
	ds_read2_b64 v[6:9], v19 offset0:160 offset1:250
	v_add_nc_u32_e32 v18, 0x5a0, v60
	v_mov_b32_e32 v19, v61
	v_add_nc_u32_e32 v20, 0x5fa, v60
	v_add_co_u32 v14, vcc_lo, v0, v14
	v_add_co_ci_u32_e32 v15, vcc_lo, v1, v15, vcc_lo
	v_lshlrev_b64 v[18:19], 3, v[18:19]
	v_add_co_u32 v16, vcc_lo, v0, v16
	v_add_co_ci_u32_e32 v17, vcc_lo, v1, v17, vcc_lo
	v_add_co_u32 v18, vcc_lo, v0, v18
	v_add_co_ci_u32_e32 v19, vcc_lo, v1, v19, vcc_lo
	global_store_dwordx2 v[10:11], v[12:13], off
	s_waitcnt lgkmcnt(1)
	global_store_dwordx2 v[14:15], v[2:3], off
	global_store_dwordx2 v[16:17], v[4:5], off
	s_waitcnt lgkmcnt(0)
	global_store_dwordx2 v[18:19], v[6:7], off
	v_lshlrev_b64 v[2:3], 3, v[20:21]
	v_add_nc_u32_e32 v4, 0x3000, v22
	v_add_nc_u32_e32 v10, 0x6ae, v60
	v_mov_b32_e32 v11, v61
	v_add_nc_u32_e32 v12, 0x3800, v22
	v_add_nc_u32_e32 v6, 0x654, v60
	v_mov_b32_e32 v7, v61
	v_add_co_u32 v14, vcc_lo, v0, v2
	v_add_co_ci_u32_e32 v15, vcc_lo, v1, v3, vcc_lo
	ds_read2_b64 v[2:5], v4 offset0:84 offset1:174
	v_lshlrev_b64 v[16:17], 3, v[10:11]
	ds_read2_b64 v[10:13], v12 offset0:8 offset1:98
	v_lshlrev_b64 v[6:7], 3, v[6:7]
	v_add_nc_u32_e32 v18, 0x708, v60
	v_mov_b32_e32 v19, v61
	v_add_nc_u32_e32 v20, 0x762, v60
	v_add_co_u32 v6, vcc_lo, v0, v6
	v_lshlrev_b64 v[18:19], 3, v[18:19]
	v_add_co_ci_u32_e32 v7, vcc_lo, v1, v7, vcc_lo
	v_add_co_u32 v16, vcc_lo, v0, v16
	v_add_co_ci_u32_e32 v17, vcc_lo, v1, v17, vcc_lo
	v_add_co_u32 v18, vcc_lo, v0, v18
	v_add_co_ci_u32_e32 v19, vcc_lo, v1, v19, vcc_lo
	global_store_dwordx2 v[14:15], v[8:9], off
	s_waitcnt lgkmcnt(1)
	global_store_dwordx2 v[6:7], v[2:3], off
	global_store_dwordx2 v[16:17], v[4:5], off
	s_waitcnt lgkmcnt(0)
	global_store_dwordx2 v[18:19], v[10:11], off
	v_lshlrev_b64 v[2:3], 3, v[20:21]
	v_add_nc_u32_e32 v6, 0x7bc, v60
	v_mov_b32_e32 v7, v61
	v_add_nc_u32_e32 v4, 0x3c00, v22
	v_add_nc_u32_e32 v8, 0x816, v60
	v_mov_b32_e32 v9, v61
	v_add_co_u32 v10, vcc_lo, v0, v2
	v_lshlrev_b64 v[6:7], 3, v[6:7]
	v_add_co_ci_u32_e32 v11, vcc_lo, v1, v3, vcc_lo
	ds_read2_b64 v[2:5], v4 offset0:60 offset1:150
	v_add_nc_u32_e32 v16, 0x870, v60
	v_mov_b32_e32 v17, v61
	v_lshlrev_b64 v[8:9], 3, v[8:9]
	ds_read_b64 v[14:15], v22 offset:17280
	v_add_co_u32 v6, vcc_lo, v0, v6
	v_lshlrev_b64 v[16:17], 3, v[16:17]
	v_add_co_ci_u32_e32 v7, vcc_lo, v1, v7, vcc_lo
	v_add_co_u32 v8, vcc_lo, v0, v8
	v_add_co_ci_u32_e32 v9, vcc_lo, v1, v9, vcc_lo
	v_add_co_u32 v16, vcc_lo, v0, v16
	v_add_co_ci_u32_e32 v17, vcc_lo, v1, v17, vcc_lo
	v_cmp_eq_u32_e32 vcc_lo, 0x59, v60
	global_store_dwordx2 v[10:11], v[12:13], off
	s_waitcnt lgkmcnt(1)
	global_store_dwordx2 v[6:7], v[2:3], off
	global_store_dwordx2 v[8:9], v[4:5], off
	s_waitcnt lgkmcnt(0)
	global_store_dwordx2 v[16:17], v[14:15], off
	s_and_b32 exec_lo, exec_lo, vcc_lo
	s_cbranch_execz .LBB0_32
; %bb.31:
	ds_read_b64 v[2:3], v61 offset:18000
	v_add_co_u32 v0, vcc_lo, 0x4000, v0
	v_add_co_ci_u32_e32 v1, vcc_lo, 0, v1, vcc_lo
	s_waitcnt lgkmcnt(0)
	global_store_dwordx2 v[0:1], v[2:3], off offset:1616
.LBB0_32:
	s_endpgm
	.section	.rodata,"a",@progbits
	.p2align	6, 0x0
	.amdhsa_kernel fft_rtc_fwd_len2250_factors_10_3_5_3_5_wgs_90_tpt_90_halfLds_sp_op_CI_CI_unitstride_sbrr_R2C_dirReg
		.amdhsa_group_segment_fixed_size 0
		.amdhsa_private_segment_fixed_size 0
		.amdhsa_kernarg_size 104
		.amdhsa_user_sgpr_count 6
		.amdhsa_user_sgpr_private_segment_buffer 1
		.amdhsa_user_sgpr_dispatch_ptr 0
		.amdhsa_user_sgpr_queue_ptr 0
		.amdhsa_user_sgpr_kernarg_segment_ptr 1
		.amdhsa_user_sgpr_dispatch_id 0
		.amdhsa_user_sgpr_flat_scratch_init 0
		.amdhsa_user_sgpr_private_segment_size 0
		.amdhsa_wavefront_size32 1
		.amdhsa_uses_dynamic_stack 0
		.amdhsa_system_sgpr_private_segment_wavefront_offset 0
		.amdhsa_system_sgpr_workgroup_id_x 1
		.amdhsa_system_sgpr_workgroup_id_y 0
		.amdhsa_system_sgpr_workgroup_id_z 0
		.amdhsa_system_sgpr_workgroup_info 0
		.amdhsa_system_vgpr_workitem_id 0
		.amdhsa_next_free_vgpr 143
		.amdhsa_next_free_sgpr 27
		.amdhsa_reserve_vcc 1
		.amdhsa_reserve_flat_scratch 0
		.amdhsa_float_round_mode_32 0
		.amdhsa_float_round_mode_16_64 0
		.amdhsa_float_denorm_mode_32 3
		.amdhsa_float_denorm_mode_16_64 3
		.amdhsa_dx10_clamp 1
		.amdhsa_ieee_mode 1
		.amdhsa_fp16_overflow 0
		.amdhsa_workgroup_processor_mode 1
		.amdhsa_memory_ordered 1
		.amdhsa_forward_progress 0
		.amdhsa_shared_vgpr_count 0
		.amdhsa_exception_fp_ieee_invalid_op 0
		.amdhsa_exception_fp_denorm_src 0
		.amdhsa_exception_fp_ieee_div_zero 0
		.amdhsa_exception_fp_ieee_overflow 0
		.amdhsa_exception_fp_ieee_underflow 0
		.amdhsa_exception_fp_ieee_inexact 0
		.amdhsa_exception_int_div_zero 0
	.end_amdhsa_kernel
	.text
.Lfunc_end0:
	.size	fft_rtc_fwd_len2250_factors_10_3_5_3_5_wgs_90_tpt_90_halfLds_sp_op_CI_CI_unitstride_sbrr_R2C_dirReg, .Lfunc_end0-fft_rtc_fwd_len2250_factors_10_3_5_3_5_wgs_90_tpt_90_halfLds_sp_op_CI_CI_unitstride_sbrr_R2C_dirReg
                                        ; -- End function
	.section	.AMDGPU.csdata,"",@progbits
; Kernel info:
; codeLenInByte = 18888
; NumSgprs: 29
; NumVgprs: 143
; ScratchSize: 0
; MemoryBound: 0
; FloatMode: 240
; IeeeMode: 1
; LDSByteSize: 0 bytes/workgroup (compile time only)
; SGPRBlocks: 3
; VGPRBlocks: 17
; NumSGPRsForWavesPerEU: 29
; NumVGPRsForWavesPerEU: 143
; Occupancy: 7
; WaveLimiterHint : 1
; COMPUTE_PGM_RSRC2:SCRATCH_EN: 0
; COMPUTE_PGM_RSRC2:USER_SGPR: 6
; COMPUTE_PGM_RSRC2:TRAP_HANDLER: 0
; COMPUTE_PGM_RSRC2:TGID_X_EN: 1
; COMPUTE_PGM_RSRC2:TGID_Y_EN: 0
; COMPUTE_PGM_RSRC2:TGID_Z_EN: 0
; COMPUTE_PGM_RSRC2:TIDIG_COMP_CNT: 0
	.text
	.p2alignl 6, 3214868480
	.fill 48, 4, 3214868480
	.type	__hip_cuid_60ed8fc2df7de282,@object ; @__hip_cuid_60ed8fc2df7de282
	.section	.bss,"aw",@nobits
	.globl	__hip_cuid_60ed8fc2df7de282
__hip_cuid_60ed8fc2df7de282:
	.byte	0                               ; 0x0
	.size	__hip_cuid_60ed8fc2df7de282, 1

	.ident	"AMD clang version 19.0.0git (https://github.com/RadeonOpenCompute/llvm-project roc-6.4.0 25133 c7fe45cf4b819c5991fe208aaa96edf142730f1d)"
	.section	".note.GNU-stack","",@progbits
	.addrsig
	.addrsig_sym __hip_cuid_60ed8fc2df7de282
	.amdgpu_metadata
---
amdhsa.kernels:
  - .args:
      - .actual_access:  read_only
        .address_space:  global
        .offset:         0
        .size:           8
        .value_kind:     global_buffer
      - .offset:         8
        .size:           8
        .value_kind:     by_value
      - .actual_access:  read_only
        .address_space:  global
        .offset:         16
        .size:           8
        .value_kind:     global_buffer
      - .actual_access:  read_only
        .address_space:  global
        .offset:         24
        .size:           8
        .value_kind:     global_buffer
      - .actual_access:  read_only
        .address_space:  global
        .offset:         32
        .size:           8
        .value_kind:     global_buffer
      - .offset:         40
        .size:           8
        .value_kind:     by_value
      - .actual_access:  read_only
        .address_space:  global
        .offset:         48
        .size:           8
        .value_kind:     global_buffer
      - .actual_access:  read_only
        .address_space:  global
        .offset:         56
        .size:           8
        .value_kind:     global_buffer
      - .offset:         64
        .size:           4
        .value_kind:     by_value
      - .actual_access:  read_only
        .address_space:  global
        .offset:         72
        .size:           8
        .value_kind:     global_buffer
      - .actual_access:  read_only
        .address_space:  global
        .offset:         80
        .size:           8
        .value_kind:     global_buffer
      - .actual_access:  read_only
        .address_space:  global
        .offset:         88
        .size:           8
        .value_kind:     global_buffer
      - .actual_access:  write_only
        .address_space:  global
        .offset:         96
        .size:           8
        .value_kind:     global_buffer
    .group_segment_fixed_size: 0
    .kernarg_segment_align: 8
    .kernarg_segment_size: 104
    .language:       OpenCL C
    .language_version:
      - 2
      - 0
    .max_flat_workgroup_size: 90
    .name:           fft_rtc_fwd_len2250_factors_10_3_5_3_5_wgs_90_tpt_90_halfLds_sp_op_CI_CI_unitstride_sbrr_R2C_dirReg
    .private_segment_fixed_size: 0
    .sgpr_count:     29
    .sgpr_spill_count: 0
    .symbol:         fft_rtc_fwd_len2250_factors_10_3_5_3_5_wgs_90_tpt_90_halfLds_sp_op_CI_CI_unitstride_sbrr_R2C_dirReg.kd
    .uniform_work_group_size: 1
    .uses_dynamic_stack: false
    .vgpr_count:     143
    .vgpr_spill_count: 0
    .wavefront_size: 32
    .workgroup_processor_mode: 1
amdhsa.target:   amdgcn-amd-amdhsa--gfx1030
amdhsa.version:
  - 1
  - 2
...

	.end_amdgpu_metadata
